;; amdgpu-corpus repo=ROCm/rocFFT kind=compiled arch=gfx906 opt=O3
	.text
	.amdgcn_target "amdgcn-amd-amdhsa--gfx906"
	.amdhsa_code_object_version 6
	.protected	fft_rtc_fwd_len510_factors_17_2_3_5_wgs_238_tpt_34_halfLds_sp_op_CI_CI_unitstride_sbrr_R2C_dirReg ; -- Begin function fft_rtc_fwd_len510_factors_17_2_3_5_wgs_238_tpt_34_halfLds_sp_op_CI_CI_unitstride_sbrr_R2C_dirReg
	.globl	fft_rtc_fwd_len510_factors_17_2_3_5_wgs_238_tpt_34_halfLds_sp_op_CI_CI_unitstride_sbrr_R2C_dirReg
	.p2align	8
	.type	fft_rtc_fwd_len510_factors_17_2_3_5_wgs_238_tpt_34_halfLds_sp_op_CI_CI_unitstride_sbrr_R2C_dirReg,@function
fft_rtc_fwd_len510_factors_17_2_3_5_wgs_238_tpt_34_halfLds_sp_op_CI_CI_unitstride_sbrr_R2C_dirReg: ; @fft_rtc_fwd_len510_factors_17_2_3_5_wgs_238_tpt_34_halfLds_sp_op_CI_CI_unitstride_sbrr_R2C_dirReg
; %bb.0:
	s_load_dwordx4 s[8:11], s[4:5], 0x58
	s_load_dwordx4 s[12:15], s[4:5], 0x0
	;; [unrolled: 1-line block ×3, first 2 shown]
	v_mul_u32_u24_e32 v1, 0x788, v0
	v_lshrrev_b32_e32 v1, 16, v1
	v_mad_u64_u32 v[3:4], s[0:1], s6, 7, v[1:2]
	v_mov_b32_e32 v5, 0
	v_mov_b32_e32 v1, 0
	;; [unrolled: 1-line block ×3, first 2 shown]
	s_waitcnt lgkmcnt(0)
	v_cmp_lt_u64_e64 s[0:1], s[14:15], 2
	v_mov_b32_e32 v2, 0
	v_mov_b32_e32 v37, v2
	;; [unrolled: 1-line block ×3, first 2 shown]
	s_and_b64 vcc, exec, s[0:1]
	v_mov_b32_e32 v36, v1
	v_mov_b32_e32 v40, v3
	s_cbranch_vccnz .LBB0_8
; %bb.1:
	s_load_dwordx2 s[0:1], s[4:5], 0x10
	s_add_u32 s2, s18, 8
	s_addc_u32 s3, s19, 0
	s_add_u32 s6, s16, 8
	v_mov_b32_e32 v1, 0
	s_addc_u32 s7, s17, 0
	v_mov_b32_e32 v2, 0
	s_waitcnt lgkmcnt(0)
	s_add_u32 s20, s0, 8
	v_mov_b32_e32 v37, v2
	v_mov_b32_e32 v8, v4
	s_addc_u32 s21, s1, 0
	s_mov_b64 s[22:23], 1
	v_mov_b32_e32 v36, v1
	v_mov_b32_e32 v7, v3
.LBB0_2:                                ; =>This Inner Loop Header: Depth=1
	s_load_dwordx2 s[24:25], s[20:21], 0x0
                                        ; implicit-def: $vgpr40_vgpr41
	s_waitcnt lgkmcnt(0)
	v_or_b32_e32 v6, s25, v8
	v_cmp_ne_u64_e32 vcc, 0, v[5:6]
	s_and_saveexec_b64 s[0:1], vcc
	s_xor_b64 s[26:27], exec, s[0:1]
	s_cbranch_execz .LBB0_4
; %bb.3:                                ;   in Loop: Header=BB0_2 Depth=1
	v_cvt_f32_u32_e32 v4, s24
	v_cvt_f32_u32_e32 v6, s25
	s_sub_u32 s0, 0, s24
	s_subb_u32 s1, 0, s25
	v_mac_f32_e32 v4, 0x4f800000, v6
	v_rcp_f32_e32 v4, v4
	v_mul_f32_e32 v4, 0x5f7ffffc, v4
	v_mul_f32_e32 v6, 0x2f800000, v4
	v_trunc_f32_e32 v6, v6
	v_mac_f32_e32 v4, 0xcf800000, v6
	v_cvt_u32_f32_e32 v6, v6
	v_cvt_u32_f32_e32 v4, v4
	v_mul_lo_u32 v9, s0, v6
	v_mul_hi_u32 v10, s0, v4
	v_mul_lo_u32 v12, s1, v4
	v_mul_lo_u32 v11, s0, v4
	v_add_u32_e32 v9, v10, v9
	v_add_u32_e32 v9, v9, v12
	v_mul_hi_u32 v10, v4, v11
	v_mul_lo_u32 v12, v4, v9
	v_mul_hi_u32 v14, v4, v9
	v_mul_hi_u32 v13, v6, v11
	v_mul_lo_u32 v11, v6, v11
	v_mul_hi_u32 v15, v6, v9
	v_add_co_u32_e32 v10, vcc, v10, v12
	v_addc_co_u32_e32 v12, vcc, 0, v14, vcc
	v_mul_lo_u32 v9, v6, v9
	v_add_co_u32_e32 v10, vcc, v10, v11
	v_addc_co_u32_e32 v10, vcc, v12, v13, vcc
	v_addc_co_u32_e32 v11, vcc, 0, v15, vcc
	v_add_co_u32_e32 v9, vcc, v10, v9
	v_addc_co_u32_e32 v10, vcc, 0, v11, vcc
	v_add_co_u32_e32 v4, vcc, v4, v9
	v_addc_co_u32_e32 v6, vcc, v6, v10, vcc
	v_mul_lo_u32 v9, s0, v6
	v_mul_hi_u32 v10, s0, v4
	v_mul_lo_u32 v11, s1, v4
	v_mul_lo_u32 v12, s0, v4
	v_add_u32_e32 v9, v10, v9
	v_add_u32_e32 v9, v9, v11
	v_mul_lo_u32 v13, v4, v9
	v_mul_hi_u32 v14, v4, v12
	v_mul_hi_u32 v15, v4, v9
	;; [unrolled: 1-line block ×3, first 2 shown]
	v_mul_lo_u32 v12, v6, v12
	v_mul_hi_u32 v10, v6, v9
	v_add_co_u32_e32 v13, vcc, v14, v13
	v_addc_co_u32_e32 v14, vcc, 0, v15, vcc
	v_mul_lo_u32 v9, v6, v9
	v_add_co_u32_e32 v12, vcc, v13, v12
	v_addc_co_u32_e32 v11, vcc, v14, v11, vcc
	v_addc_co_u32_e32 v10, vcc, 0, v10, vcc
	v_add_co_u32_e32 v9, vcc, v11, v9
	v_addc_co_u32_e32 v10, vcc, 0, v10, vcc
	v_add_co_u32_e32 v4, vcc, v4, v9
	v_addc_co_u32_e32 v6, vcc, v6, v10, vcc
	v_mad_u64_u32 v[9:10], s[0:1], v7, v6, 0
	v_mul_hi_u32 v11, v7, v4
	v_add_co_u32_e32 v13, vcc, v11, v9
	v_addc_co_u32_e32 v14, vcc, 0, v10, vcc
	v_mad_u64_u32 v[9:10], s[0:1], v8, v4, 0
	v_mad_u64_u32 v[11:12], s[0:1], v8, v6, 0
	v_add_co_u32_e32 v4, vcc, v13, v9
	v_addc_co_u32_e32 v4, vcc, v14, v10, vcc
	v_addc_co_u32_e32 v6, vcc, 0, v12, vcc
	v_add_co_u32_e32 v4, vcc, v4, v11
	v_addc_co_u32_e32 v6, vcc, 0, v6, vcc
	v_mul_lo_u32 v11, s25, v4
	v_mul_lo_u32 v12, s24, v6
	v_mad_u64_u32 v[9:10], s[0:1], s24, v4, 0
	v_add3_u32 v10, v10, v12, v11
	v_sub_u32_e32 v11, v8, v10
	v_mov_b32_e32 v12, s25
	v_sub_co_u32_e32 v9, vcc, v7, v9
	v_subb_co_u32_e64 v11, s[0:1], v11, v12, vcc
	v_subrev_co_u32_e64 v12, s[0:1], s24, v9
	v_subbrev_co_u32_e64 v11, s[0:1], 0, v11, s[0:1]
	v_cmp_le_u32_e64 s[0:1], s25, v11
	v_cndmask_b32_e64 v13, 0, -1, s[0:1]
	v_cmp_le_u32_e64 s[0:1], s24, v12
	v_cndmask_b32_e64 v12, 0, -1, s[0:1]
	v_cmp_eq_u32_e64 s[0:1], s25, v11
	v_cndmask_b32_e64 v11, v13, v12, s[0:1]
	v_add_co_u32_e64 v12, s[0:1], 2, v4
	v_addc_co_u32_e64 v13, s[0:1], 0, v6, s[0:1]
	v_add_co_u32_e64 v14, s[0:1], 1, v4
	v_addc_co_u32_e64 v15, s[0:1], 0, v6, s[0:1]
	v_subb_co_u32_e32 v10, vcc, v8, v10, vcc
	v_cmp_ne_u32_e64 s[0:1], 0, v11
	v_cmp_le_u32_e32 vcc, s25, v10
	v_cndmask_b32_e64 v11, v15, v13, s[0:1]
	v_cndmask_b32_e64 v13, 0, -1, vcc
	v_cmp_le_u32_e32 vcc, s24, v9
	v_cndmask_b32_e64 v9, 0, -1, vcc
	v_cmp_eq_u32_e32 vcc, s25, v10
	v_cndmask_b32_e32 v9, v13, v9, vcc
	v_cmp_ne_u32_e32 vcc, 0, v9
	v_cndmask_b32_e32 v41, v6, v11, vcc
	v_cndmask_b32_e64 v6, v14, v12, s[0:1]
	v_cndmask_b32_e32 v40, v4, v6, vcc
.LBB0_4:                                ;   in Loop: Header=BB0_2 Depth=1
	s_andn2_saveexec_b64 s[0:1], s[26:27]
	s_cbranch_execz .LBB0_6
; %bb.5:                                ;   in Loop: Header=BB0_2 Depth=1
	v_cvt_f32_u32_e32 v4, s24
	s_sub_i32 s26, 0, s24
	v_mov_b32_e32 v41, v5
	v_rcp_iflag_f32_e32 v4, v4
	v_mul_f32_e32 v4, 0x4f7ffffe, v4
	v_cvt_u32_f32_e32 v4, v4
	v_mul_lo_u32 v6, s26, v4
	v_mul_hi_u32 v6, v4, v6
	v_add_u32_e32 v4, v4, v6
	v_mul_hi_u32 v4, v7, v4
	v_mul_lo_u32 v6, v4, s24
	v_add_u32_e32 v9, 1, v4
	v_sub_u32_e32 v6, v7, v6
	v_subrev_u32_e32 v10, s24, v6
	v_cmp_le_u32_e32 vcc, s24, v6
	v_cndmask_b32_e32 v6, v6, v10, vcc
	v_cndmask_b32_e32 v4, v4, v9, vcc
	v_add_u32_e32 v9, 1, v4
	v_cmp_le_u32_e32 vcc, s24, v6
	v_cndmask_b32_e32 v40, v4, v9, vcc
.LBB0_6:                                ;   in Loop: Header=BB0_2 Depth=1
	s_or_b64 exec, exec, s[0:1]
	v_mul_lo_u32 v4, v41, s24
	v_mul_lo_u32 v6, v40, s25
	v_mad_u64_u32 v[9:10], s[0:1], v40, s24, 0
	s_load_dwordx2 s[0:1], s[6:7], 0x0
	s_load_dwordx2 s[24:25], s[2:3], 0x0
	v_add3_u32 v4, v10, v6, v4
	v_sub_co_u32_e32 v6, vcc, v7, v9
	v_subb_co_u32_e32 v4, vcc, v8, v4, vcc
	s_waitcnt lgkmcnt(0)
	v_mul_lo_u32 v7, s0, v4
	v_mul_lo_u32 v8, s1, v6
	v_mad_u64_u32 v[1:2], s[0:1], s0, v6, v[1:2]
	s_add_u32 s22, s22, 1
	s_addc_u32 s23, s23, 0
	s_add_u32 s2, s2, 8
	v_mul_lo_u32 v4, s24, v4
	v_mul_lo_u32 v9, s25, v6
	v_mad_u64_u32 v[36:37], s[0:1], s24, v6, v[36:37]
	v_add3_u32 v2, v8, v2, v7
	s_addc_u32 s3, s3, 0
	v_mov_b32_e32 v6, s14
	s_add_u32 s6, s6, 8
	v_mov_b32_e32 v7, s15
	s_addc_u32 s7, s7, 0
	v_cmp_ge_u64_e32 vcc, s[22:23], v[6:7]
	s_add_u32 s20, s20, 8
	v_add3_u32 v37, v9, v37, v4
	s_addc_u32 s21, s21, 0
	s_cbranch_vccnz .LBB0_8
; %bb.7:                                ;   in Loop: Header=BB0_2 Depth=1
	v_mov_b32_e32 v7, v40
	v_mov_b32_e32 v8, v41
	s_branch .LBB0_2
.LBB0_8:
	s_mov_b32 s0, 0x24924925
	v_mul_hi_u32 v4, v3, s0
	s_load_dwordx2 s[0:1], s[4:5], 0x28
	s_lshl_b64 s[6:7], s[14:15], 3
	s_add_u32 s4, s18, s6
	v_sub_u32_e32 v5, v3, v4
	v_lshrrev_b32_e32 v5, 1, v5
	v_add_u32_e32 v4, v5, v4
	v_lshrrev_b32_e32 v4, 2, v4
	v_mul_lo_u32 v4, v4, 7
	s_waitcnt lgkmcnt(0)
	v_cmp_gt_u64_e32 vcc, s[0:1], v[40:41]
	v_cmp_le_u64_e64 s[0:1], s[0:1], v[40:41]
	s_addc_u32 s5, s19, s7
	v_sub_u32_e32 v3, v3, v4
                                        ; implicit-def: $vgpr38
	s_and_saveexec_b64 s[2:3], s[0:1]
	s_xor_b64 s[0:1], exec, s[2:3]
; %bb.9:
	s_mov_b32 s2, 0x7878788
	v_mul_hi_u32 v1, v0, s2
	v_mul_u32_u24_e32 v1, 34, v1
	v_sub_u32_e32 v38, v0, v1
                                        ; implicit-def: $vgpr0
                                        ; implicit-def: $vgpr1_vgpr2
; %bb.10:
	s_or_saveexec_b64 s[2:3], s[0:1]
	v_mul_u32_u24_e32 v3, 0x1ff, v3
	v_lshlrev_b32_e32 v47, 3, v3
	s_xor_b64 exec, exec, s[2:3]
	s_cbranch_execz .LBB0_12
; %bb.11:
	s_add_u32 s0, s16, s6
	s_addc_u32 s1, s17, s7
	s_load_dwordx2 s[0:1], s[0:1], 0x0
	s_mov_b32 s6, 0x7878788
	v_mul_hi_u32 v5, v0, s6
	s_waitcnt lgkmcnt(0)
	v_mul_lo_u32 v6, s1, v40
	v_mul_lo_u32 v7, s0, v41
	v_mad_u64_u32 v[3:4], s[0:1], s0, v40, 0
	v_mul_u32_u24_e32 v5, 34, v5
	v_sub_u32_e32 v38, v0, v5
	v_add3_u32 v4, v4, v7, v6
	v_lshlrev_b64 v[3:4], 3, v[3:4]
	v_mov_b32_e32 v0, s9
	v_add_co_u32_e64 v3, s[0:1], s8, v3
	v_addc_co_u32_e64 v4, s[0:1], v0, v4, s[0:1]
	v_lshlrev_b64 v[0:1], 3, v[1:2]
	v_lshlrev_b32_e32 v32, 3, v38
	v_add_co_u32_e64 v0, s[0:1], v3, v0
	v_addc_co_u32_e64 v1, s[0:1], v4, v1, s[0:1]
	v_add_co_u32_e64 v0, s[0:1], v0, v32
	v_addc_co_u32_e64 v1, s[0:1], 0, v1, s[0:1]
	global_load_dwordx2 v[2:3], v[0:1], off
	global_load_dwordx2 v[4:5], v[0:1], off offset:272
	global_load_dwordx2 v[6:7], v[0:1], off offset:544
	;; [unrolled: 1-line block ×14, first 2 shown]
	v_add3_u32 v0, 0, v47, v32
	v_add_u32_e32 v1, 0x800, v0
	s_waitcnt vmcnt(13)
	ds_write2_b64 v0, v[2:3], v[4:5] offset1:34
	s_waitcnt vmcnt(11)
	ds_write2_b64 v0, v[6:7], v[8:9] offset0:68 offset1:102
	s_waitcnt vmcnt(9)
	ds_write2_b64 v0, v[10:11], v[12:13] offset0:136 offset1:170
	;; [unrolled: 2-line block ×6, first 2 shown]
	s_waitcnt vmcnt(0)
	ds_write_b64 v0, v[30:31] offset:3808
.LBB0_12:
	s_or_b64 exec, exec, s[2:3]
	v_lshlrev_b32_e32 v39, 3, v38
	v_add_u32_e32 v0, 0, v39
	v_add_u32_e32 v46, v0, v47
	;; [unrolled: 1-line block ×3, first 2 shown]
	s_waitcnt lgkmcnt(0)
	s_barrier
	ds_read2_b64 v[16:19], v46 offset0:30 offset1:60
	ds_read2_b64 v[4:7], v48 offset0:194 offset1:224
	v_add_u32_e32 v44, 0, v47
	v_add_u32_e32 v45, v44, v39
	ds_read_b64 v[42:43], v45
	ds_read2_b64 v[20:23], v46 offset0:90 offset1:120
	ds_read2_b64 v[8:11], v48 offset0:134 offset1:164
	s_waitcnt lgkmcnt(3)
	v_sub_f32_e32 v65, v17, v7
	v_mul_f32_e32 v68, 0xbf2c7751, v65
	v_sub_f32_e32 v66, v19, v5
	v_add_f32_e32 v49, v6, v16
	v_mov_b32_e32 v0, v68
	v_mul_f32_e32 v72, 0xbf7ee86f, v66
	v_fmac_f32_e32 v0, 0x3f3d2fb0, v49
	v_add_f32_e32 v50, v4, v18
	v_mov_b32_e32 v1, v72
	v_sub_f32_e32 v69, v16, v6
	s_waitcnt lgkmcnt(2)
	v_add_f32_e32 v0, v42, v0
	v_fmac_f32_e32 v1, 0x3dbcf732, v50
	s_mov_b32 s6, 0x3f3d2fb0
	v_add_f32_e32 v51, v7, v17
	v_mul_f32_e32 v76, 0xbf2c7751, v69
	v_sub_f32_e32 v70, v18, v4
	v_add_f32_e32 v0, v1, v0
	v_fma_f32 v1, v51, s6, -v76
	s_mov_b32 s7, 0x3dbcf732
	v_add_f32_e32 v53, v5, v19
	v_mul_f32_e32 v78, 0xbf7ee86f, v70
	s_waitcnt lgkmcnt(0)
	v_sub_f32_e32 v67, v21, v11
	v_add_f32_e32 v1, v43, v1
	v_fma_f32 v2, v53, s7, -v78
	v_mul_f32_e32 v75, 0xbf4c4adb, v67
	ds_read2_b64 v[28:31], v46 offset0:150 offset1:180
	ds_read2_b64 v[12:15], v48 offset0:74 offset1:104
	v_add_f32_e32 v1, v2, v1
	v_add_f32_e32 v52, v10, v20
	v_mov_b32_e32 v2, v75
	v_sub_f32_e32 v73, v20, v10
	v_fmac_f32_e32 v2, 0xbf1a4643, v52
	s_mov_b32 s8, 0xbf1a4643
	v_add_f32_e32 v55, v11, v21
	v_mul_f32_e32 v82, 0xbf4c4adb, v73
	v_sub_f32_e32 v71, v23, v9
	v_add_f32_e32 v0, v2, v0
	v_fma_f32 v2, v55, s8, -v82
	v_mul_f32_e32 v80, 0xbe3c28d5, v71
	v_add_f32_e32 v1, v2, v1
	v_add_f32_e32 v54, v8, v22
	v_mov_b32_e32 v2, v80
	v_sub_f32_e32 v77, v22, v8
	v_fmac_f32_e32 v2, 0xbf7ba420, v54
	s_mov_b32 s9, 0xbf7ba420
	v_add_f32_e32 v57, v9, v23
	v_mul_f32_e32 v87, 0xbe3c28d5, v77
	s_waitcnt lgkmcnt(0)
	v_sub_f32_e32 v74, v29, v15
	v_add_f32_e32 v0, v2, v0
	v_fma_f32 v2, v57, s9, -v87
	v_mul_f32_e32 v84, 0x3f06c442, v74
	ds_read2_b64 v[32:35], v46 offset0:210 offset1:240
	ds_read2_b64 v[24:27], v48 offset0:14 offset1:44
	v_add_f32_e32 v1, v2, v1
	v_add_f32_e32 v56, v14, v28
	v_mov_b32_e32 v2, v84
	v_sub_f32_e32 v81, v28, v14
	v_fmac_f32_e32 v2, 0xbf59a7d5, v56
	s_mov_b32 s14, 0xbf59a7d5
	v_add_f32_e32 v59, v15, v29
	v_mul_f32_e32 v91, 0x3f06c442, v81
	v_sub_f32_e32 v79, v31, v13
	v_add_f32_e32 v0, v2, v0
	v_fma_f32 v2, v59, s14, -v91
	v_mul_f32_e32 v89, 0x3f763a35, v79
	v_add_f32_e32 v1, v2, v1
	v_add_f32_e32 v58, v12, v30
	v_mov_b32_e32 v2, v89
	v_sub_f32_e32 v85, v30, v12
	v_fmac_f32_e32 v2, 0xbe8c1d8e, v58
	s_mov_b32 s15, 0xbe8c1d8e
	v_add_f32_e32 v61, v13, v31
	v_mul_f32_e32 v93, 0x3f763a35, v85
	s_waitcnt lgkmcnt(0)
	v_sub_f32_e32 v83, v33, v27
	v_add_f32_e32 v0, v2, v0
	v_fma_f32 v2, v61, s15, -v93
	v_mul_f32_e32 v92, 0x3f65296c, v83
	v_add_f32_e32 v1, v2, v1
	v_add_f32_e32 v60, v26, v32
	v_mov_b32_e32 v2, v92
	v_sub_f32_e32 v90, v32, v26
	v_fmac_f32_e32 v2, 0x3ee437d1, v60
	s_mov_b32 s16, 0x3ee437d1
	v_add_f32_e32 v63, v27, v33
	v_mul_f32_e32 v95, 0x3f65296c, v90
	v_sub_f32_e32 v86, v35, v25
	v_add_f32_e32 v0, v2, v0
	v_fma_f32 v2, v63, s16, -v95
	v_mul_f32_e32 v94, 0x3eb8f4ab, v86
	v_add_f32_e32 v1, v2, v1
	v_add_f32_e32 v62, v24, v34
	v_mov_b32_e32 v2, v94
	v_sub_f32_e32 v88, v34, v24
	s_mov_b32 s17, 0x3f6eb680
	v_fmac_f32_e32 v2, 0x3f6eb680, v62
	v_add_f32_e32 v64, v25, v35
	v_mul_f32_e32 v96, 0x3eb8f4ab, v88
	v_mul_f32_e32 v105, 0xbf65296c, v65
	v_fma_f32 v3, v64, s17, -v96
	v_add_f32_e32 v2, v2, v0
	v_mov_b32_e32 v0, v105
	v_mul_f32_e32 v106, 0xbf4c4adb, v66
	v_add_f32_e32 v3, v3, v1
	v_fmac_f32_e32 v0, 0x3ee437d1, v49
	v_mov_b32_e32 v1, v106
	v_add_f32_e32 v0, v42, v0
	v_fmac_f32_e32 v1, 0xbf1a4643, v50
	v_mul_f32_e32 v107, 0x3e3c28d5, v67
	v_add_f32_e32 v0, v1, v0
	v_mov_b32_e32 v1, v107
	v_fmac_f32_e32 v1, 0xbf7ba420, v52
	v_mul_f32_e32 v108, 0x3f763a35, v71
	v_add_f32_e32 v0, v1, v0
	v_mov_b32_e32 v1, v108
	;; [unrolled: 4-line block ×6, first 2 shown]
	v_fmac_f32_e32 v1, 0xbf59a7d5, v62
	v_mul_f32_e32 v113, 0xbf65296c, v69
	v_add_f32_e32 v0, v1, v0
	v_fma_f32 v1, v51, s16, -v113
	v_mul_f32_e32 v120, 0xbf4c4adb, v70
	v_add_f32_e32 v1, v43, v1
	v_fma_f32 v97, v53, s8, -v120
	;; [unrolled: 3-line block ×8, first 2 shown]
	v_add_f32_e32 v1, v97, v1
	v_cmp_gt_u32_e64 s[0:1], 30, v38
	s_barrier
	s_and_saveexec_b64 s[2:3], s[0:1]
	s_cbranch_execz .LBB0_14
; %bb.13:
	v_mul_f32_e32 v97, 0xbe3c28d5, v69
	v_mov_b32_e32 v98, v97
	v_fmac_f32_e32 v98, 0xbf7ba420, v51
	v_add_f32_e32 v99, v43, v98
	v_mul_f32_e32 v98, 0x3eb8f4ab, v70
	v_mov_b32_e32 v100, v98
	v_fmac_f32_e32 v100, 0x3f6eb680, v53
	v_add_f32_e32 v100, v100, v99
	;; [unrolled: 4-line block ×3, first 2 shown]
	v_mul_f32_e32 v100, 0x3f2c7751, v77
	v_add_f32_e32 v16, v42, v16
	v_mov_b32_e32 v102, v100
	v_add_f32_e32 v17, v43, v17
	v_add_f32_e32 v16, v16, v18
	v_fmac_f32_e32 v102, 0x3f3d2fb0, v57
	v_add_f32_e32 v17, v17, v19
	v_add_f32_e32 v16, v16, v20
	v_add_f32_e32 v102, v102, v101
	v_mul_f32_e32 v101, 0xbf4c4adb, v81
	v_add_f32_e32 v17, v17, v21
	v_add_f32_e32 v126, v16, v22
	v_mov_b32_e32 v103, v101
	v_add_f32_e32 v125, v17, v23
	v_add_f32_e32 v28, v126, v28
	v_fmac_f32_e32 v103, 0xbf1a4643, v59
	v_add_f32_e32 v29, v125, v29
	v_add_f32_e32 v28, v28, v30
	v_add_f32_e32 v103, v103, v102
	v_mul_f32_e32 v102, 0x3f65296c, v85
	v_add_f32_e32 v29, v29, v31
	;; [unrolled: 10-line block ×4, first 2 shown]
	v_add_f32_e32 v8, v14, v8
	v_fma_f32 v121, v49, s9, -v104
	v_mul_f32_e32 v19, 0x3eb8f4ab, v66
	v_add_f32_e32 v9, v13, v9
	v_add_f32_e32 v8, v8, v10
	;; [unrolled: 1-line block ×3, first 2 shown]
	v_fma_f32 v18, v50, s17, -v19
	v_add_f32_e32 v9, v9, v11
	v_mul_f32_e32 v131, 0xbf4c4adb, v69
	v_add_f32_e32 v4, v8, v4
	v_add_f32_e32 v18, v18, v121
	v_mul_f32_e32 v121, 0xbf06c442, v67
	v_add_f32_e32 v5, v9, v5
	v_add_f32_e32 v4, v4, v6
	v_mov_b32_e32 v6, v131
	v_mul_f32_e32 v132, 0x3f763a35, v70
	v_fma_f32 v122, v52, s14, -v121
	v_add_f32_e32 v5, v5, v7
	v_fmac_f32_e32 v6, 0xbf1a4643, v51
	v_mov_b32_e32 v7, v132
	v_add_f32_e32 v18, v122, v18
	v_mul_f32_e32 v122, 0x3f2c7751, v71
	v_add_f32_e32 v6, v43, v6
	v_fmac_f32_e32 v7, 0xbe8c1d8e, v53
	v_mul_f32_e32 v133, 0xbeb8f4ab, v73
	v_fma_f32 v124, v54, s6, -v122
	v_mul_f32_e32 v20, 0xbf4c4adb, v74
	v_add_f32_e32 v6, v7, v6
	v_mov_b32_e32 v7, v133
	v_add_f32_e32 v124, v124, v18
	v_fma_f32 v16, v56, s8, -v20
	v_mul_f32_e32 v21, 0x3f65296c, v79
	v_fmac_f32_e32 v7, 0x3f6eb680, v55
	v_mul_f32_e32 v134, 0xbf06c442, v77
	v_add_f32_e32 v16, v16, v124
	v_fma_f32 v17, v58, s16, -v21
	v_mul_f32_e32 v22, 0xbf763a35, v83
	v_add_f32_e32 v6, v7, v6
	v_mov_b32_e32 v7, v134
	v_mul_f32_e32 v18, 0x3f7ee86f, v88
	v_add_f32_e32 v16, v17, v16
	v_fma_f32 v17, v60, s15, -v22
	v_fmac_f32_e32 v7, 0xbf59a7d5, v57
	v_mul_f32_e32 v135, 0x3f7ee86f, v81
	v_add_f32_e32 v16, v17, v16
	v_mov_b32_e32 v17, v18
	v_add_f32_e32 v6, v7, v6
	v_mov_b32_e32 v7, v135
	v_fmac_f32_e32 v17, 0x3dbcf732, v64
	v_mul_f32_e32 v23, 0x3f7ee86f, v86
	v_fmac_f32_e32 v7, 0x3dbcf732, v59
	v_mul_f32_e32 v136, 0xbf2c7751, v85
	v_add_f32_e32 v17, v17, v123
	v_fma_f32 v123, v62, s7, -v23
	v_mul_f32_e32 v30, 0xbf06c442, v69
	v_add_f32_e32 v6, v7, v6
	v_mov_b32_e32 v7, v136
	v_add_f32_e32 v16, v123, v16
	v_mov_b32_e32 v31, v30
	v_mul_f32_e32 v123, 0x3f65296c, v70
	v_fmac_f32_e32 v7, 0x3f3d2fb0, v61
	v_mul_f32_e32 v137, 0xbe3c28d5, v90
	v_fmac_f32_e32 v31, 0xbf59a7d5, v51
	v_mov_b32_e32 v124, v123
	v_add_f32_e32 v6, v7, v6
	v_mov_b32_e32 v7, v137
	v_add_f32_e32 v31, v43, v31
	v_fmac_f32_e32 v124, 0x3ee437d1, v53
	v_fmac_f32_e32 v7, 0xbf7ba420, v63
	v_mul_f32_e32 v138, 0xbf4c4adb, v65
	v_add_f32_e32 v31, v124, v31
	v_mul_f32_e32 v124, 0xbf7ee86f, v73
	v_add_f32_e32 v6, v7, v6
	v_fma_f32 v7, v49, s8, -v138
	v_mul_f32_e32 v139, 0x3f763a35, v66
	v_mov_b32_e32 v125, v124
	v_mul_f32_e32 v32, 0x3f4c4adb, v77
	v_add_f32_e32 v7, v42, v7
	v_fma_f32 v8, v50, s15, -v139
	v_mul_f32_e32 v140, 0xbeb8f4ab, v67
	v_fmac_f32_e32 v125, 0x3dbcf732, v55
	v_mov_b32_e32 v33, v32
	v_add_f32_e32 v7, v8, v7
	v_fma_f32 v8, v52, s17, -v140
	v_mul_f32_e32 v141, 0xbf06c442, v71
	v_add_f32_e32 v31, v125, v31
	v_fmac_f32_e32 v33, 0xbf1a4643, v57
	v_add_f32_e32 v7, v8, v7
	v_fma_f32 v8, v54, s14, -v141
	v_mul_f32_e32 v142, 0x3f7ee86f, v74
	v_add_f32_e32 v31, v33, v31
	v_mul_f32_e32 v33, 0xbeb8f4ab, v81
	v_add_f32_e32 v7, v8, v7
	v_fma_f32 v8, v56, s7, -v142
	v_mul_f32_e32 v143, 0xbf2c7751, v79
	v_mov_b32_e32 v34, v33
	v_add_f32_e32 v7, v8, v7
	v_fma_f32 v8, v58, s6, -v143
	v_mul_f32_e32 v144, 0xbe3c28d5, v83
	v_fmac_f32_e32 v34, 0x3f6eb680, v59
	v_add_f32_e32 v7, v8, v7
	v_fma_f32 v8, v60, s9, -v144
	v_mul_f32_e32 v145, 0x3f65296c, v88
	v_add_f32_e32 v31, v34, v31
	v_mul_f32_e32 v34, 0xbe3c28d5, v85
	v_add_f32_e32 v8, v8, v7
	v_mov_b32_e32 v7, v145
	v_mov_b32_e32 v35, v34
	v_fmac_f32_e32 v7, 0x3ee437d1, v64
	v_mul_f32_e32 v146, 0x3f65296c, v86
	v_fmac_f32_e32 v35, 0xbf7ba420, v61
	v_add_f32_e32 v7, v7, v6
	v_fma_f32 v6, v62, s16, -v146
	v_mul_f32_e32 v147, 0xbf763a35, v69
	v_add_f32_e32 v31, v35, v31
	v_mul_f32_e32 v35, 0x3f2c7751, v90
	v_add_f32_e32 v6, v6, v8
	v_mov_b32_e32 v8, v147
	v_mul_f32_e32 v148, 0x3f06c442, v70
	v_mov_b32_e32 v125, v35
	v_fmac_f32_e32 v8, 0xbe8c1d8e, v51
	v_mov_b32_e32 v9, v148
	v_fmac_f32_e32 v125, 0x3f3d2fb0, v63
	v_add_f32_e32 v8, v43, v8
	v_fmac_f32_e32 v9, 0xbf59a7d5, v53
	v_mul_f32_e32 v149, 0x3f2c7751, v73
	v_add_f32_e32 v31, v125, v31
	v_mul_f32_e32 v125, 0xbf06c442, v65
	v_add_f32_e32 v8, v9, v8
	v_mov_b32_e32 v9, v149
	v_fma_f32 v26, v49, s14, -v125
	v_mul_f32_e32 v126, 0x3f65296c, v66
	v_fmac_f32_e32 v9, 0x3f3d2fb0, v55
	v_mul_f32_e32 v150, 0xbf65296c, v77
	v_add_f32_e32 v26, v42, v26
	v_fma_f32 v27, v50, s16, -v126
	v_mul_f32_e32 v15, 0xbf7ee86f, v67
	v_add_f32_e32 v8, v9, v8
	v_mov_b32_e32 v9, v150
	v_add_f32_e32 v26, v27, v26
	v_fma_f32 v12, v52, s7, -v15
	v_mul_f32_e32 v128, 0x3f4c4adb, v71
	v_fmac_f32_e32 v9, 0x3ee437d1, v57
	v_mul_f32_e32 v151, 0xbe3c28d5, v81
	v_add_f32_e32 v12, v12, v26
	v_fma_f32 v24, v54, s8, -v128
	v_mul_f32_e32 v129, 0xbeb8f4ab, v74
	v_add_f32_e32 v8, v9, v8
	v_mov_b32_e32 v9, v151
	v_mul_f32_e32 v127, 0xbf763a35, v88
	v_add_f32_e32 v12, v24, v12
	v_fma_f32 v24, v56, s17, -v129
	v_fmac_f32_e32 v9, 0xbf7ba420, v59
	v_mul_f32_e32 v152, 0x3f7ee86f, v85
	v_add_f32_e32 v24, v24, v12
	v_mov_b32_e32 v12, v127
	v_add_f32_e32 v8, v9, v8
	v_mov_b32_e32 v9, v152
	v_fmac_f32_e32 v12, 0xbe8c1d8e, v64
	v_mul_f32_e32 v10, 0xbe3c28d5, v79
	v_fmac_f32_e32 v9, 0x3dbcf732, v61
	v_mul_f32_e32 v153, 0xbeb8f4ab, v90
	v_add_f32_e32 v12, v12, v31
	v_fma_f32 v11, v58, s9, -v10
	v_mul_f32_e32 v31, 0x3f2c7751, v83
	v_add_f32_e32 v8, v9, v8
	v_mov_b32_e32 v9, v153
	v_add_f32_e32 v11, v11, v24
	v_fma_f32 v13, v60, s6, -v31
	v_mul_f32_e32 v130, 0xbf763a35, v86
	v_fmac_f32_e32 v9, 0x3f6eb680, v63
	v_mul_f32_e32 v154, 0xbf763a35, v65
	v_add_f32_e32 v11, v13, v11
	v_fma_f32 v13, v62, s15, -v130
	v_add_f32_e32 v8, v9, v8
	v_fma_f32 v9, v49, s15, -v154
	v_mul_f32_e32 v155, 0x3f06c442, v66
	v_add_f32_e32 v11, v13, v11
	v_add_f32_e32 v9, v42, v9
	v_fma_f32 v13, v50, s14, -v155
	v_mul_f32_e32 v156, 0x3f2c7751, v67
	v_add_f32_e32 v9, v13, v9
	v_fma_f32 v13, v52, s6, -v156
	v_mul_f32_e32 v157, 0xbf65296c, v71
	v_add_f32_e32 v9, v13, v9
	v_fma_f32 v13, v54, s16, -v157
	v_mul_f32_e32 v158, 0xbe3c28d5, v74
	v_add_f32_e32 v9, v13, v9
	v_fma_f32 v13, v56, s9, -v158
	v_mul_f32_e32 v159, 0x3f7ee86f, v79
	v_add_f32_e32 v9, v13, v9
	v_fma_f32 v13, v58, s7, -v159
	v_mul_f32_e32 v160, 0xbeb8f4ab, v83
	v_add_f32_e32 v9, v13, v9
	v_fma_f32 v13, v60, s17, -v160
	v_mul_f32_e32 v161, 0xbf4c4adb, v88
	v_add_f32_e32 v13, v13, v9
	v_mov_b32_e32 v9, v161
	v_fmac_f32_e32 v9, 0xbf1a4643, v64
	v_mul_f32_e32 v162, 0xbf4c4adb, v86
	v_add_f32_e32 v9, v9, v8
	v_fma_f32 v8, v62, s8, -v162
	v_mul_f32_e32 v163, 0xbf7ee86f, v69
	v_add_f32_e32 v8, v8, v13
	v_mov_b32_e32 v13, v163
	v_mul_f32_e32 v164, 0xbe3c28d5, v70
	v_fmac_f32_e32 v13, 0x3dbcf732, v51
	v_mov_b32_e32 v14, v164
	v_add_f32_e32 v13, v43, v13
	v_fmac_f32_e32 v14, 0xbf7ba420, v53
	v_mul_f32_e32 v165, 0x3f763a35, v73
	v_add_f32_e32 v13, v14, v13
	v_mov_b32_e32 v14, v165
	v_fmac_f32_e32 v14, 0xbe8c1d8e, v55
	v_mul_f32_e32 v166, 0x3eb8f4ab, v77
	v_add_f32_e32 v13, v14, v13
	v_mov_b32_e32 v14, v166
	;; [unrolled: 4-line block ×5, first 2 shown]
	v_fmac_f32_e32 v14, 0xbf1a4643, v63
	v_mul_f32_e32 v170, 0xbf7ee86f, v65
	v_add_f32_e32 v13, v14, v13
	v_fma_f32 v14, v49, s7, -v170
	v_mul_f32_e32 v171, 0xbe3c28d5, v66
	v_add_f32_e32 v14, v42, v14
	v_fma_f32 v24, v50, s9, -v171
	;; [unrolled: 3-line block ×7, first 2 shown]
	v_mul_f32_e32 v177, 0x3f2c7751, v88
	v_add_f32_e32 v24, v24, v14
	v_mov_b32_e32 v14, v177
	v_fmac_f32_e32 v14, 0x3f3d2fb0, v64
	v_mul_f32_e32 v178, 0x3f2c7751, v86
	v_add_f32_e32 v14, v14, v13
	v_fma_f32 v13, v62, s6, -v178
	v_add_f32_e32 v13, v13, v24
	v_mul_f32_e32 v24, 0x3ee437d1, v51
	v_mul_f32_e32 v26, 0x3ee437d1, v49
	v_add_f32_e32 v24, v113, v24
	v_mul_f32_e32 v25, 0xbf1a4643, v53
	v_sub_f32_e32 v26, v26, v105
	v_mul_f32_e32 v27, 0xbf1a4643, v50
	v_add_f32_e32 v25, v120, v25
	v_add_f32_e32 v24, v43, v24
	v_sub_f32_e32 v27, v27, v106
	v_add_f32_e32 v26, v42, v26
	v_add_f32_e32 v24, v25, v24
	v_mul_f32_e32 v25, 0xbf7ba420, v55
	v_add_f32_e32 v26, v27, v26
	v_mul_f32_e32 v27, 0xbf7ba420, v52
	v_add_f32_e32 v25, v114, v25
	v_sub_f32_e32 v27, v27, v107
	v_add_f32_e32 v24, v25, v24
	v_mul_f32_e32 v25, 0xbe8c1d8e, v57
	v_add_f32_e32 v26, v27, v26
	v_mul_f32_e32 v27, 0xbe8c1d8e, v54
	v_add_f32_e32 v25, v115, v25
	v_sub_f32_e32 v27, v27, v108
	;; [unrolled: 6-line block ×6, first 2 shown]
	v_add_f32_e32 v25, v25, v24
	v_add_f32_e32 v24, v27, v26
	v_mul_f32_e32 v26, 0x3f3d2fb0, v51
	v_mul_f32_e32 v28, 0x3f3d2fb0, v49
	v_add_f32_e32 v26, v76, v26
	v_mul_f32_e32 v27, 0x3dbcf732, v53
	v_sub_f32_e32 v28, v28, v68
	v_mul_f32_e32 v29, 0x3dbcf732, v50
	v_add_f32_e32 v27, v78, v27
	v_add_f32_e32 v26, v43, v26
	v_sub_f32_e32 v29, v29, v72
	v_add_f32_e32 v28, v42, v28
	v_add_f32_e32 v26, v27, v26
	v_mul_f32_e32 v27, 0xbf1a4643, v55
	v_add_f32_e32 v28, v29, v28
	v_mul_f32_e32 v29, 0xbf1a4643, v52
	v_add_f32_e32 v27, v82, v27
	v_sub_f32_e32 v29, v29, v75
	v_add_f32_e32 v26, v27, v26
	v_mul_f32_e32 v27, 0xbf7ba420, v57
	v_add_f32_e32 v28, v29, v28
	v_mul_f32_e32 v29, 0xbf7ba420, v54
	v_add_f32_e32 v27, v87, v27
	v_sub_f32_e32 v29, v29, v80
	;; [unrolled: 6-line block ×6, first 2 shown]
	v_mul_f32_e32 v68, 0xbeb8f4ab, v69
	v_add_f32_e32 v27, v27, v26
	v_add_f32_e32 v26, v29, v28
	v_mov_b32_e32 v28, v68
	v_mul_f32_e32 v69, 0xbf2c7751, v70
	v_fmac_f32_e32 v28, 0x3f6eb680, v51
	v_mov_b32_e32 v29, v69
	v_add_f32_e32 v28, v43, v28
	v_fmac_f32_e32 v29, 0x3f3d2fb0, v53
	v_mul_f32_e32 v70, 0xbf65296c, v73
	v_add_f32_e32 v28, v29, v28
	v_mov_b32_e32 v29, v70
	v_fmac_f32_e32 v29, 0x3ee437d1, v55
	v_mul_f32_e32 v72, 0xbf7ee86f, v77
	v_add_f32_e32 v28, v29, v28
	v_mov_b32_e32 v29, v72
	;; [unrolled: 4-line block ×5, first 2 shown]
	v_fmac_f32_e32 v29, 0xbf59a7d5, v63
	v_mul_f32_e32 v65, 0xbeb8f4ab, v65
	v_add_f32_e32 v28, v29, v28
	v_fma_f32 v29, v49, s17, -v65
	v_mul_f32_e32 v66, 0xbf2c7751, v66
	v_add_f32_e32 v29, v42, v29
	v_fma_f32 v77, v50, s6, -v66
	;; [unrolled: 3-line block ×5, first 2 shown]
	v_add_f32_e32 v29, v77, v29
	v_mul_f32_e32 v77, 0xbf4c4adb, v79
	v_fma_f32 v78, v58, s8, -v77
	v_add_f32_e32 v29, v78, v29
	v_mul_f32_e32 v78, 0xbf06c442, v83
	v_fma_f32 v79, v60, s14, -v78
	v_mul_f32_e32 v80, 0xbe3c28d5, v88
	v_add_f32_e32 v79, v79, v29
	v_mov_b32_e32 v29, v80
	v_fmac_f32_e32 v29, 0xbf7ba420, v64
	v_mul_f32_e32 v81, 0xbe3c28d5, v86
	v_add_f32_e32 v29, v29, v28
	v_fma_f32 v28, v62, s9, -v81
	v_add_f32_e32 v28, v28, v79
	v_fma_f32 v79, v51, s9, -v97
	;; [unrolled: 2-line block ×8, first 2 shown]
	v_fmac_f32_e32 v104, 0xbf7ba420, v49
	v_add_f32_e32 v79, v82, v79
	v_add_f32_e32 v82, v42, v104
	v_fmac_f32_e32 v19, 0x3f6eb680, v50
	v_add_f32_e32 v19, v19, v82
	v_fmac_f32_e32 v121, 0xbf59a7d5, v52
	;; [unrolled: 2-line block ×6, first 2 shown]
	v_add_f32_e32 v20, v22, v19
	v_fma_f32 v18, v64, s7, -v18
	v_fmac_f32_e32 v23, 0x3dbcf732, v62
	v_add_f32_e32 v19, v18, v79
	v_add_f32_e32 v18, v23, v20
	v_fma_f32 v20, v51, s14, -v30
	v_add_f32_e32 v20, v43, v20
	v_fma_f32 v21, v53, s16, -v123
	;; [unrolled: 2-line block ×7, first 2 shown]
	v_fmac_f32_e32 v125, 0xbf59a7d5, v49
	v_add_f32_e32 v20, v21, v20
	v_add_f32_e32 v21, v42, v125
	v_fmac_f32_e32 v126, 0x3ee437d1, v50
	v_add_f32_e32 v21, v126, v21
	v_fmac_f32_e32 v15, 0x3dbcf732, v52
	;; [unrolled: 2-line block ×6, first 2 shown]
	v_fma_f32 v21, v64, s15, -v127
	v_add_f32_e32 v10, v31, v10
	v_fmac_f32_e32 v130, 0xbe8c1d8e, v62
	v_add_f32_e32 v21, v21, v20
	v_add_f32_e32 v20, v130, v10
	v_fma_f32 v10, v51, s8, -v131
	v_add_f32_e32 v10, v43, v10
	v_fma_f32 v15, v53, s15, -v132
	v_add_f32_e32 v10, v15, v10
	v_fma_f32 v15, v55, s17, -v133
	v_add_f32_e32 v10, v15, v10
	v_fma_f32 v15, v57, s14, -v134
	v_add_f32_e32 v10, v15, v10
	v_fma_f32 v15, v59, s7, -v135
	v_add_f32_e32 v10, v15, v10
	v_fma_f32 v15, v61, s6, -v136
	v_add_f32_e32 v10, v15, v10
	v_fma_f32 v15, v63, s9, -v137
	v_add_f32_e32 v10, v15, v10
	v_fma_f32 v15, v64, s16, -v145
	v_fmac_f32_e32 v138, 0xbf1a4643, v49
	v_add_f32_e32 v23, v15, v10
	v_add_f32_e32 v10, v42, v138
	v_fmac_f32_e32 v139, 0xbe8c1d8e, v50
	v_add_f32_e32 v10, v139, v10
	v_fmac_f32_e32 v140, 0x3f6eb680, v52
	v_add_f32_e32 v10, v140, v10
	v_fmac_f32_e32 v141, 0xbf59a7d5, v54
	v_add_f32_e32 v10, v141, v10
	v_fmac_f32_e32 v142, 0x3dbcf732, v56
	v_add_f32_e32 v10, v142, v10
	v_fmac_f32_e32 v143, 0x3f3d2fb0, v58
	v_add_f32_e32 v10, v143, v10
	v_fmac_f32_e32 v144, 0xbf7ba420, v60
	v_add_f32_e32 v10, v144, v10
	v_fmac_f32_e32 v146, 0x3ee437d1, v62
	v_add_f32_e32 v22, v146, v10
	v_fma_f32 v10, v51, s15, -v147
	v_add_f32_e32 v10, v43, v10
	v_fma_f32 v15, v53, s14, -v148
	v_add_f32_e32 v10, v15, v10
	v_fma_f32 v15, v55, s6, -v149
	v_add_f32_e32 v10, v15, v10
	v_fma_f32 v15, v57, s16, -v150
	v_add_f32_e32 v10, v15, v10
	v_fma_f32 v15, v59, s9, -v151
	v_add_f32_e32 v10, v15, v10
	v_fma_f32 v15, v61, s7, -v152
	v_add_f32_e32 v10, v15, v10
	v_fma_f32 v15, v63, s17, -v153
	v_add_f32_e32 v10, v15, v10
	v_fma_f32 v15, v64, s8, -v161
	v_fmac_f32_e32 v154, 0xbe8c1d8e, v49
	v_add_f32_e32 v31, v15, v10
	v_add_f32_e32 v10, v42, v154
	v_fmac_f32_e32 v155, 0xbf59a7d5, v50
	v_add_f32_e32 v10, v155, v10
	v_fmac_f32_e32 v156, 0x3f3d2fb0, v52
	v_add_f32_e32 v10, v156, v10
	v_fmac_f32_e32 v157, 0x3ee437d1, v54
	v_add_f32_e32 v10, v157, v10
	v_fmac_f32_e32 v158, 0xbf7ba420, v56
	v_add_f32_e32 v10, v158, v10
	v_fmac_f32_e32 v159, 0x3dbcf732, v58
	v_add_f32_e32 v10, v159, v10
	v_fmac_f32_e32 v160, 0x3f6eb680, v60
	v_add_f32_e32 v10, v160, v10
	v_fmac_f32_e32 v162, 0xbf1a4643, v62
	;; [unrolled: 32-line block ×4, first 2 shown]
	v_add_f32_e32 v34, v81, v10
	v_mul_u32_u24_e32 v10, 0x88, v38
	v_add3_u32 v10, 0, v10, v47
	ds_write2_b64 v10, v[4:5], v[28:29] offset1:1
	ds_write2_b64 v10, v[26:27], v[24:25] offset0:2 offset1:3
	ds_write2_b64 v10, v[13:14], v[8:9] offset0:4 offset1:5
	ds_write2_b64 v10, v[6:7], v[11:12] offset0:6 offset1:7
	ds_write2_b64 v10, v[16:17], v[18:19] offset0:8 offset1:9
	ds_write2_b64 v10, v[20:21], v[22:23] offset0:10 offset1:11
	ds_write2_b64 v10, v[30:31], v[32:33] offset0:12 offset1:13
	ds_write2_b64 v10, v[0:1], v[2:3] offset0:14 offset1:15
	ds_write_b64 v10, v[34:35] offset:128
.LBB0_14:
	s_or_b64 exec, exec, s[2:3]
	v_add_u32_e32 v4, 0x400, v46
	s_waitcnt lgkmcnt(0)
	s_barrier
	ds_read2_b64 v[16:19], v4 offset0:127 offset1:161
	ds_read2_b64 v[12:15], v46 offset0:34 offset1:68
	;; [unrolled: 1-line block ×6, first 2 shown]
	ds_read_b64 v[30:31], v45
	ds_read_b64 v[32:33], v46 offset:3672
	v_cmp_gt_u32_e64 s[0:1], 17, v38
	s_and_saveexec_b64 s[2:3], s[0:1]
	s_cbranch_execz .LBB0_16
; %bb.15:
	v_add_u32_e32 v0, 0x770, v46
	ds_read2_b64 v[0:3], v0 offset1:255
.LBB0_16:
	s_or_b64 exec, exec, s[2:3]
	v_subrev_u32_e32 v28, 17, v38
	v_cndmask_b32_e64 v28, v28, v38, s[0:1]
	v_mov_b32_e32 v29, 0
	v_lshlrev_b64 v[42:43], 3, v[28:29]
	v_mov_b32_e32 v48, s13
	v_add_co_u32_e64 v52, s[2:3], s12, v42
	v_addc_co_u32_e64 v53, s[2:3], v48, v43, s[2:3]
	v_add_u32_e32 v35, 34, v38
	s_movk_i32 s2, 0xf1
	v_mul_lo_u16_sdwa v42, v35, s2 dst_sel:DWORD dst_unused:UNUSED_PAD src0_sel:BYTE_0 src1_sel:DWORD
	v_add_u32_e32 v34, 0x44, v38
	v_lshrrev_b16_e32 v66, 12, v42
	v_mul_lo_u16_e32 v42, 17, v66
	v_mul_lo_u16_sdwa v51, v34, s2 dst_sel:DWORD dst_unused:UNUSED_PAD src0_sel:BYTE_0 src1_sel:DWORD
	v_sub_u16_e32 v43, v35, v42
	v_mov_b32_e32 v42, 3
	v_lshrrev_b16_e32 v68, 12, v51
	v_lshlrev_b32_sdwa v67, v42, v43 dst_sel:DWORD dst_unused:UNUSED_PAD src0_sel:DWORD src1_sel:BYTE_0
	v_mul_lo_u16_e32 v43, 17, v68
	v_sub_u16_e32 v43, v34, v43
	v_lshlrev_b32_sdwa v69, v42, v43 dst_sel:DWORD dst_unused:UNUSED_PAD src0_sel:DWORD src1_sel:BYTE_0
	v_add_u16_e32 v43, 0x66, v38
	v_mul_lo_u16_sdwa v49, v43, s2 dst_sel:DWORD dst_unused:UNUSED_PAD src0_sel:BYTE_0 src1_sel:DWORD
	v_lshrrev_b16_e32 v70, 12, v49
	v_mul_lo_u16_e32 v48, 17, v70
	v_sub_u16_e32 v48, v43, v48
	v_lshlrev_b32_sdwa v71, v42, v48 dst_sel:DWORD dst_unused:UNUSED_PAD src0_sel:DWORD src1_sel:BYTE_0
	v_add_u16_e32 v48, 0x88, v38
	v_mul_lo_u16_sdwa v50, v48, s2 dst_sel:DWORD dst_unused:UNUSED_PAD src0_sel:BYTE_0 src1_sel:DWORD
	v_lshrrev_b16_e32 v72, 12, v50
	global_load_dwordx2 v[54:55], v[52:53], off
	global_load_dwordx2 v[56:57], v67, s[12:13]
	global_load_dwordx2 v[58:59], v69, s[12:13]
	;; [unrolled: 1-line block ×3, first 2 shown]
	v_mul_lo_u16_e32 v52, 17, v72
	v_sub_u16_e32 v52, v48, v52
	v_lshlrev_b32_sdwa v73, v42, v52 dst_sel:DWORD dst_unused:UNUSED_PAD src0_sel:DWORD src1_sel:BYTE_0
	v_add_u16_e32 v52, 0xaa, v38
	v_mul_lo_u16_sdwa v53, v52, s2 dst_sel:DWORD dst_unused:UNUSED_PAD src0_sel:BYTE_0 src1_sel:DWORD
	v_lshrrev_b16_e32 v74, 12, v53
	v_mul_lo_u16_e32 v53, 17, v74
	v_sub_u16_e32 v52, v52, v53
	v_add_u16_e32 v62, 0xcc, v38
	v_lshlrev_b32_sdwa v75, v42, v52 dst_sel:DWORD dst_unused:UNUSED_PAD src0_sel:DWORD src1_sel:BYTE_0
	v_mul_lo_u16_sdwa v52, v62, s2 dst_sel:DWORD dst_unused:UNUSED_PAD src0_sel:BYTE_0 src1_sel:DWORD
	v_lshrrev_b16_e32 v76, 12, v52
	v_mul_lo_u16_e32 v63, 17, v76
	global_load_dwordx2 v[52:53], v73, s[12:13]
	v_sub_u16_e32 v64, v62, v63
	global_load_dwordx2 v[62:63], v75, s[12:13]
	v_lshlrev_b32_sdwa v77, v42, v64 dst_sel:DWORD dst_unused:UNUSED_PAD src0_sel:DWORD src1_sel:BYTE_0
	global_load_dwordx2 v[64:65], v77, s[12:13]
	v_cmp_lt_u32_e64 s[2:3], 16, v38
	v_lshlrev_b32_e32 v28, 3, v28
	s_movk_i32 s6, 0x110
	s_load_dwordx2 s[4:5], s[4:5], 0x0
	s_waitcnt vmcnt(0) lgkmcnt(0)
	s_barrier
	v_mul_f32_e32 v78, v55, v17
	v_mul_f32_e32 v55, v55, v16
	v_fma_f32 v16, v54, v16, -v78
	v_fmac_f32_e32 v55, v54, v17
	v_mul_f32_e32 v17, v57, v19
	v_mul_f32_e32 v54, v57, v18
	;; [unrolled: 1-line block ×4, first 2 shown]
	v_fma_f32 v82, v56, v18, -v17
	v_fmac_f32_e32 v54, v56, v19
	v_fma_f32 v56, v58, v20, -v57
	v_fmac_f32_e32 v59, v58, v21
	v_sub_f32_e32 v16, v30, v16
	v_fma_f32 v18, v30, 2.0, -v16
	v_sub_f32_e32 v17, v31, v55
	v_fma_f32 v19, v31, 2.0, -v17
	v_sub_f32_e32 v20, v12, v82
	v_mul_f32_e32 v79, v53, v25
	v_mul_f32_e32 v53, v53, v24
	;; [unrolled: 1-line block ×3, first 2 shown]
	v_fma_f32 v58, v52, v24, -v79
	v_fmac_f32_e32 v53, v52, v25
	v_fma_f32 v52, v62, v26, -v80
	v_sub_f32_e32 v30, v4, v52
	v_mov_b32_e32 v52, 0x110
	v_cndmask_b32_e64 v52, 0, v52, s[2:3]
	v_add_u32_e32 v52, 0, v52
	v_add3_u32 v28, v52, v28, v47
	v_sub_f32_e32 v21, v13, v54
	ds_write2_b64 v28, v[18:19], v[16:17] offset1:17
	v_mad_u32_u24 v16, v66, s6, 0
	v_mul_f32_e32 v78, v61, v23
	v_mul_f32_e32 v61, v61, v22
	v_fma_f32 v12, v12, 2.0, -v20
	v_fma_f32 v13, v13, 2.0, -v21
	v_add3_u32 v16, v16, v67, v47
	v_fma_f32 v57, v60, v22, -v78
	v_fmac_f32_e32 v61, v60, v23
	v_sub_f32_e32 v22, v14, v56
	v_sub_f32_e32 v23, v15, v59
	ds_write2_b64 v16, v[12:13], v[20:21] offset1:17
	v_mad_u32_u24 v12, v68, s6, 0
	v_fma_f32 v14, v14, 2.0, -v22
	v_fma_f32 v15, v15, 2.0, -v23
	v_add3_u32 v12, v12, v69, v47
	v_sub_f32_e32 v24, v8, v57
	v_sub_f32_e32 v25, v9, v61
	ds_write2_b64 v12, v[14:15], v[22:23] offset1:17
	v_mad_u32_u24 v12, v70, s6, 0
	v_mul_f32_e32 v63, v63, v26
	v_fma_f32 v8, v8, 2.0, -v24
	v_fma_f32 v9, v9, 2.0, -v25
	v_add3_u32 v12, v12, v71, v47
	v_fmac_f32_e32 v63, v62, v27
	v_sub_f32_e32 v26, v10, v58
	v_sub_f32_e32 v27, v11, v53
	ds_write2_b64 v12, v[8:9], v[24:25] offset1:17
	v_mad_u32_u24 v8, v72, s6, 0
	v_fma_f32 v10, v10, 2.0, -v26
	v_fma_f32 v11, v11, 2.0, -v27
	v_add3_u32 v8, v8, v73, v47
	v_mul_f32_e32 v81, v65, v33
	v_mul_f32_e32 v65, v65, v32
	v_sub_f32_e32 v31, v5, v63
	ds_write2_b64 v8, v[10:11], v[26:27] offset1:17
	v_mad_u32_u24 v8, v74, s6, 0
	v_fma_f32 v32, v64, v32, -v81
	v_fmac_f32_e32 v65, v64, v33
	v_fma_f32 v4, v4, 2.0, -v30
	v_fma_f32 v5, v5, 2.0, -v31
	v_add3_u32 v8, v8, v75, v47
	v_sub_f32_e32 v32, v6, v32
	v_sub_f32_e32 v33, v7, v65
	ds_write2_b64 v8, v[4:5], v[30:31] offset1:17
	v_mad_u32_u24 v4, v76, s6, 0
	v_fma_f32 v6, v6, 2.0, -v32
	v_fma_f32 v7, v7, 2.0, -v33
	v_add3_u32 v4, v4, v77, v47
	ds_write2_b64 v4, v[6:7], v[32:33] offset1:17
	s_and_saveexec_b64 s[2:3], s[0:1]
	s_cbranch_execz .LBB0_18
; %bb.17:
	v_add_u32_e32 v4, 0xee, v38
	s_mov_b32 s6, 0xf0f1
	v_mul_u32_u24_sdwa v5, v4, s6 dst_sel:DWORD dst_unused:UNUSED_PAD src0_sel:WORD_0 src1_sel:DWORD
	v_lshrrev_b32_e32 v5, 20, v5
	v_mul_lo_u16_e32 v5, 17, v5
	v_sub_u16_e32 v4, v4, v5
	v_lshlrev_b32_e32 v6, 3, v4
	global_load_dwordx2 v[4:5], v6, s[12:13]
	v_add3_u32 v6, 0, v6, v47
	s_waitcnt vmcnt(0)
	v_mul_f32_e32 v7, v2, v5
	v_mul_f32_e32 v5, v3, v5
	v_fmac_f32_e32 v7, v3, v4
	v_fma_f32 v2, v2, v4, -v5
	v_sub_f32_e32 v3, v1, v7
	v_sub_f32_e32 v2, v0, v2
	v_fma_f32 v1, v1, 2.0, -v3
	v_fma_f32 v0, v0, 2.0, -v2
	v_add_u32_e32 v4, 0x800, v6
	ds_write2_b64 v4, v[0:1], v[2:3] offset0:220 offset1:237
.LBB0_18:
	s_or_b64 exec, exec, s[2:3]
	v_lshlrev_b32_e32 v28, 1, v38
	v_lshlrev_b64 v[0:1], 3, v[28:29]
	v_mov_b32_e32 v64, s13
	v_add_co_u32_e64 v0, s[2:3], s12, v0
	v_addc_co_u32_e64 v1, s[2:3], v64, v1, s[2:3]
	s_waitcnt lgkmcnt(0)
	s_barrier
	global_load_dwordx4 v[2:5], v[0:1], off offset:136
	v_lshrrev_b16_e32 v0, 13, v51
	v_mul_lo_u16_e32 v0, 34, v0
	v_sub_u16_e32 v28, v34, v0
	v_mov_b32_e32 v0, 4
	v_lshlrev_b32_sdwa v1, v0, v28 dst_sel:DWORD dst_unused:UNUSED_PAD src0_sel:DWORD src1_sel:BYTE_0
	global_load_dwordx4 v[6:9], v1, s[12:13] offset:136
	v_lshrrev_b16_e32 v1, 13, v49
	v_mul_lo_u16_e32 v1, 34, v1
	v_sub_u16_e32 v43, v43, v1
	v_lshlrev_b32_sdwa v1, v0, v43 dst_sel:DWORD dst_unused:UNUSED_PAD src0_sel:DWORD src1_sel:BYTE_0
	v_lshrrev_b16_e32 v14, 13, v50
	global_load_dwordx4 v[10:13], v1, s[12:13] offset:136
	v_mul_lo_u16_e32 v1, 34, v14
	v_sub_u16_e32 v65, v48, v1
	v_lshlrev_b32_sdwa v0, v0, v65 dst_sel:DWORD dst_unused:UNUSED_PAD src0_sel:DWORD src1_sel:BYTE_0
	global_load_dwordx4 v[14:17], v0, s[12:13] offset:136
	ds_read_b64 v[26:27], v45
	ds_read2_b64 v[18:21], v46 offset0:170 offset1:204
	v_add_u32_e32 v0, 0x800, v46
	ds_read2_b64 v[22:25], v46 offset0:34 offset1:68
	v_add_u32_e32 v1, 0x400, v46
	ds_read2_b64 v[30:33], v46 offset0:102 offset1:136
	ds_read2_b64 v[48:51], v0 offset0:50 offset1:84
	;; [unrolled: 1-line block ×5, first 2 shown]
	s_waitcnt vmcnt(0) lgkmcnt(0)
	s_barrier
	v_mul_f32_e32 v66, v3, v19
	v_mul_f32_e32 v68, v5, v51
	;; [unrolled: 1-line block ×20, first 2 shown]
	v_fma_f32 v17, v2, v18, -v66
	v_fma_f32 v18, v4, v50, -v68
	v_fmac_f32_e32 v67, v2, v19
	v_fmac_f32_e32 v69, v4, v51
	v_fma_f32 v19, v2, v20, -v70
	v_fma_f32 v20, v4, v52, -v3
	v_add_f32_e32 v3, v17, v18
	v_fmac_f32_e32 v71, v2, v21
	v_fmac_f32_e32 v72, v4, v53
	v_fma_f32 v21, v56, v6, -v5
	v_fmac_f32_e32 v73, v57, v6
	v_add_f32_e32 v2, v26, v17
	v_add_f32_e32 v4, v27, v67
	;; [unrolled: 1-line block ×3, first 2 shown]
	v_fma_f32 v26, -0.5, v3, v26
	v_fma_f32 v51, v58, v10, -v9
	v_sub_f32_e32 v5, v67, v69
	v_add_f32_e32 v3, v4, v69
	v_fmac_f32_e32 v27, -0.5, v6
	v_mov_b32_e32 v4, v26
	v_add_f32_e32 v9, v71, v72
	v_fma_f32 v50, v54, v8, -v7
	v_sub_f32_e32 v7, v17, v18
	v_fmac_f32_e32 v26, 0xbf5db3d7, v5
	v_fmac_f32_e32 v4, 0x3f5db3d7, v5
	v_mov_b32_e32 v5, v27
	v_fma_f32 v9, -0.5, v9, v23
	v_fma_f32 v52, v60, v12, -v11
	v_fmac_f32_e32 v76, v61, v12
	v_fma_f32 v48, v48, v14, -v13
	v_fmac_f32_e32 v5, 0xbf5db3d7, v7
	v_fmac_f32_e32 v27, 0x3f5db3d7, v7
	v_add_f32_e32 v7, v19, v20
	v_sub_f32_e32 v12, v19, v20
	v_mov_b32_e32 v11, v9
	v_add_f32_e32 v13, v21, v50
	v_fmac_f32_e32 v74, v55, v8
	v_fma_f32 v8, -0.5, v7, v22
	v_fmac_f32_e32 v11, 0xbf5db3d7, v12
	v_fmac_f32_e32 v9, 0x3f5db3d7, v12
	v_add_f32_e32 v12, v24, v21
	v_fma_f32 v24, -0.5, v13, v24
	v_fmac_f32_e32 v75, v59, v10
	v_fmac_f32_e32 v77, v49, v14
	v_fma_f32 v49, v62, v16, -v15
	v_sub_f32_e32 v7, v71, v72
	v_mov_b32_e32 v10, v8
	v_sub_f32_e32 v13, v73, v74
	v_mov_b32_e32 v14, v24
	v_add_f32_e32 v15, v73, v74
	v_add_f32_e32 v2, v2, v18
	;; [unrolled: 1-line block ×3, first 2 shown]
	v_fmac_f32_e32 v10, 0x3f5db3d7, v7
	v_fmac_f32_e32 v8, 0xbf5db3d7, v7
	v_add_f32_e32 v7, v23, v71
	v_fmac_f32_e32 v14, 0x3f5db3d7, v13
	v_fmac_f32_e32 v24, 0xbf5db3d7, v13
	v_add_f32_e32 v13, v25, v73
	v_fmac_f32_e32 v25, -0.5, v15
	v_fmac_f32_e32 v78, v63, v16
	v_add_f32_e32 v6, v6, v20
	v_add_f32_e32 v7, v7, v72
	v_sub_f32_e32 v16, v21, v50
	v_mov_b32_e32 v15, v25
	v_add_f32_e32 v17, v51, v52
	v_add_f32_e32 v19, v75, v76
	ds_write2_b64 v46, v[2:3], v[4:5] offset1:34
	ds_write2_b64 v46, v[26:27], v[6:7] offset0:68 offset1:102
	ds_write2_b64 v46, v[10:11], v[8:9] offset0:136 offset1:170
	v_lshlrev_b32_sdwa v2, v42, v28 dst_sel:DWORD dst_unused:UNUSED_PAD src0_sel:DWORD src1_sel:BYTE_0
	v_add_f32_e32 v12, v12, v50
	v_add_f32_e32 v13, v13, v74
	v_fmac_f32_e32 v15, 0xbf5db3d7, v16
	v_fma_f32 v18, -0.5, v17, v30
	v_fma_f32 v19, -0.5, v19, v31
	v_add3_u32 v2, 0, v2, v47
	v_fmac_f32_e32 v25, 0x3f5db3d7, v16
	v_sub_f32_e32 v17, v75, v76
	v_mov_b32_e32 v20, v18
	v_sub_f32_e32 v22, v51, v52
	v_mov_b32_e32 v21, v19
	v_add_f32_e32 v23, v48, v49
	ds_write2_b64 v2, v[12:13], v[14:15] offset0:204 offset1:238
	ds_write_b64 v2, v[24:25] offset:2176
	v_lshlrev_b32_sdwa v2, v42, v43 dst_sel:DWORD dst_unused:UNUSED_PAD src0_sel:DWORD src1_sel:BYTE_0
	v_add_f32_e32 v16, v30, v51
	v_fmac_f32_e32 v20, 0x3f5db3d7, v17
	v_fmac_f32_e32 v18, 0xbf5db3d7, v17
	v_add_f32_e32 v17, v31, v75
	v_fmac_f32_e32 v21, 0xbf5db3d7, v22
	v_fmac_f32_e32 v19, 0x3f5db3d7, v22
	v_add_f32_e32 v22, v32, v48
	v_fma_f32 v32, -0.5, v23, v32
	v_add3_u32 v2, 0, v2, v47
	v_add_f32_e32 v16, v16, v52
	v_add_f32_e32 v17, v17, v76
	v_sub_f32_e32 v23, v77, v78
	v_mov_b32_e32 v30, v32
	v_add_f32_e32 v31, v77, v78
	v_add_u32_e32 v3, 0x800, v2
	v_fmac_f32_e32 v30, 0x3f5db3d7, v23
	v_fmac_f32_e32 v32, 0xbf5db3d7, v23
	v_add_f32_e32 v23, v33, v77
	v_fmac_f32_e32 v33, -0.5, v31
	ds_write2_b64 v3, v[16:17], v[20:21] offset0:50 offset1:84
	ds_write_b64 v2, v[18:19] offset:2992
	v_lshlrev_b32_sdwa v2, v42, v65 dst_sel:DWORD dst_unused:UNUSED_PAD src0_sel:DWORD src1_sel:BYTE_0
	v_sub_f32_e32 v48, v48, v49
	v_mov_b32_e32 v31, v33
	v_add3_u32 v2, 0, v2, v47
	v_add_f32_e32 v22, v22, v49
	v_add_f32_e32 v23, v23, v78
	v_fmac_f32_e32 v31, 0xbf5db3d7, v48
	v_add_u32_e32 v3, 0x800, v2
	v_lshlrev_b32_e32 v28, 2, v38
	v_fmac_f32_e32 v33, 0x3f5db3d7, v48
	ds_write2_b64 v3, v[22:23], v[30:31] offset0:152 offset1:186
	ds_write_b64 v2, v[32:33] offset:3808
	v_lshlrev_b64 v[2:3], 3, v[28:29]
	s_waitcnt lgkmcnt(0)
	v_add_co_u32_e64 v10, s[2:3], s12, v2
	v_addc_co_u32_e64 v11, s[2:3], v64, v3, s[2:3]
	s_barrier
	global_load_dwordx4 v[2:5], v[10:11], off offset:680
	global_load_dwordx4 v[6:9], v[10:11], off offset:696
	v_lshlrev_b32_e32 v28, 2, v35
	v_lshlrev_b64 v[10:11], 3, v[28:29]
	v_lshlrev_b32_e32 v28, 2, v34
	v_add_co_u32_e64 v18, s[2:3], s12, v10
	v_addc_co_u32_e64 v19, s[2:3], v64, v11, s[2:3]
	global_load_dwordx4 v[10:13], v[18:19], off offset:680
	global_load_dwordx4 v[14:17], v[18:19], off offset:696
	v_lshlrev_b64 v[18:19], 3, v[28:29]
	v_add_co_u32_e64 v26, s[2:3], s12, v18
	v_addc_co_u32_e64 v27, s[2:3], v64, v19, s[2:3]
	global_load_dwordx4 v[18:21], v[26:27], off offset:680
	global_load_dwordx4 v[22:25], v[26:27], off offset:696
	ds_read_b64 v[34:35], v45
	ds_read_b64 v[42:43], v46 offset:816
	ds_read2_b64 v[26:29], v46 offset0:170 offset1:204
	ds_read2_b64 v[30:33], v0 offset0:50 offset1:84
	;; [unrolled: 1-line block ×4, first 2 shown]
	ds_read2_b32 v[63:64], v1 offset0:16 offset1:17
	ds_read2_b64 v[55:58], v1 offset0:110 offset1:144
	ds_read2_b64 v[59:62], v0 offset0:186 offset1:220
	s_waitcnt vmcnt(0) lgkmcnt(0)
	s_barrier
	v_cmp_ne_u32_e64 s[2:3], 0, v38
	v_mul_f32_e32 v65, v3, v43
	v_fma_f32 v65, v2, v42, -v65
	v_mul_f32_e32 v42, v3, v42
	v_fmac_f32_e32 v42, v2, v43
	v_mul_f32_e32 v2, v5, v29
	v_fma_f32 v43, v4, v28, -v2
	v_mul_f32_e32 v28, v5, v28
	v_mul_f32_e32 v2, v7, v31
	v_fmac_f32_e32 v28, v4, v29
	v_fma_f32 v29, v6, v30, -v2
	v_mul_f32_e32 v2, v9, v50
	v_mul_f32_e32 v30, v7, v30
	v_fma_f32 v7, v8, v49, -v2
	v_mul_f32_e32 v2, v64, v11
	v_fmac_f32_e32 v30, v6, v31
	v_mul_f32_e32 v31, v9, v49
	v_fma_f32 v49, v10, v63, -v2
	v_mul_f32_e32 v2, v56, v13
	v_fmac_f32_e32 v31, v8, v50
	v_mul_f32_e32 v50, v11, v63
	v_fma_f32 v63, v55, v12, -v2
	v_mul_f32_e32 v55, v55, v13
	v_mul_f32_e32 v2, v33, v15
	v_add_f32_e32 v3, v43, v29
	v_fmac_f32_e32 v55, v56, v12
	v_fma_f32 v56, v32, v14, -v2
	v_mul_f32_e32 v32, v32, v15
	v_mul_f32_e32 v2, v60, v17
	v_fma_f32 v4, -0.5, v3, v34
	v_fmac_f32_e32 v32, v33, v14
	v_fma_f32 v15, v59, v16, -v2
	v_mul_f32_e32 v33, v59, v17
	v_mul_f32_e32 v2, v27, v19
	v_sub_f32_e32 v3, v42, v31
	v_mov_b32_e32 v6, v4
	v_fmac_f32_e32 v33, v60, v16
	v_fma_f32 v59, v26, v18, -v2
	v_mul_f32_e32 v60, v26, v19
	v_mul_f32_e32 v2, v58, v21
	v_fmac_f32_e32 v6, 0x3f737871, v3
	v_sub_f32_e32 v5, v28, v30
	v_sub_f32_e32 v8, v65, v43
	;; [unrolled: 1-line block ×3, first 2 shown]
	v_fmac_f32_e32 v4, 0xbf737871, v3
	v_fmac_f32_e32 v60, v27, v18
	v_fma_f32 v27, v57, v20, -v2
	v_mul_f32_e32 v57, v57, v21
	v_mul_f32_e32 v2, v48, v23
	v_fmac_f32_e32 v6, 0x3f167918, v5
	v_add_f32_e32 v8, v8, v9
	v_fmac_f32_e32 v4, 0xbf167918, v5
	v_fmac_f32_e32 v57, v58, v20
	v_fma_f32 v58, v47, v22, -v2
	v_mul_f32_e32 v47, v47, v23
	v_mul_f32_e32 v2, v62, v25
	v_fmac_f32_e32 v6, 0x3e9e377a, v8
	v_fmac_f32_e32 v4, 0x3e9e377a, v8
	v_add_f32_e32 v8, v65, v7
	v_fmac_f32_e32 v47, v48, v22
	v_fma_f32 v48, v61, v24, -v2
	v_add_f32_e32 v2, v34, v65
	v_fma_f32 v34, -0.5, v8, v34
	v_mov_b32_e32 v8, v34
	v_add_f32_e32 v2, v2, v43
	v_fmac_f32_e32 v8, 0xbf737871, v5
	v_fmac_f32_e32 v34, 0x3f737871, v5
	v_add_f32_e32 v5, v28, v30
	v_fmac_f32_e32 v50, v64, v10
	v_add_f32_e32 v2, v2, v29
	v_sub_f32_e32 v9, v43, v65
	v_sub_f32_e32 v10, v29, v7
	v_fma_f32 v5, -0.5, v5, v35
	v_add_f32_e32 v2, v2, v7
	v_fmac_f32_e32 v8, 0x3f167918, v3
	v_add_f32_e32 v9, v9, v10
	v_fmac_f32_e32 v34, 0xbf167918, v3
	v_sub_f32_e32 v10, v65, v7
	v_mov_b32_e32 v7, v5
	v_fmac_f32_e32 v8, 0x3e9e377a, v9
	v_fmac_f32_e32 v34, 0x3e9e377a, v9
	;; [unrolled: 1-line block ×3, first 2 shown]
	v_sub_f32_e32 v11, v43, v29
	v_sub_f32_e32 v9, v42, v28
	;; [unrolled: 1-line block ×3, first 2 shown]
	v_fmac_f32_e32 v5, 0x3f737871, v10
	v_fmac_f32_e32 v7, 0xbf167918, v11
	v_add_f32_e32 v9, v9, v12
	v_fmac_f32_e32 v5, 0x3f167918, v11
	v_fmac_f32_e32 v7, 0x3e9e377a, v9
	;; [unrolled: 1-line block ×3, first 2 shown]
	v_add_f32_e32 v9, v42, v31
	v_add_f32_e32 v3, v35, v42
	v_fmac_f32_e32 v35, -0.5, v9
	v_mov_b32_e32 v9, v35
	v_fmac_f32_e32 v9, 0x3f737871, v11
	v_sub_f32_e32 v12, v28, v42
	v_sub_f32_e32 v13, v30, v31
	v_fmac_f32_e32 v35, 0xbf737871, v11
	v_fmac_f32_e32 v9, 0xbf167918, v10
	v_add_f32_e32 v12, v12, v13
	v_fmac_f32_e32 v35, 0x3f167918, v10
	v_add_f32_e32 v11, v63, v56
	v_fmac_f32_e32 v9, 0x3e9e377a, v12
	v_fmac_f32_e32 v35, 0x3e9e377a, v12
	v_fma_f32 v12, -0.5, v11, v51
	v_sub_f32_e32 v11, v50, v33
	v_mov_b32_e32 v14, v12
	v_fmac_f32_e32 v14, 0x3f737871, v11
	v_sub_f32_e32 v13, v55, v32
	v_sub_f32_e32 v16, v49, v63
	;; [unrolled: 1-line block ×3, first 2 shown]
	v_fmac_f32_e32 v12, 0xbf737871, v11
	v_fmac_f32_e32 v14, 0x3f167918, v13
	v_add_f32_e32 v16, v16, v17
	v_fmac_f32_e32 v12, 0xbf167918, v13
	v_fmac_f32_e32 v14, 0x3e9e377a, v16
	v_fmac_f32_e32 v12, 0x3e9e377a, v16
	v_add_f32_e32 v16, v49, v15
	v_fma_f32 v16, -0.5, v16, v51
	v_add_f32_e32 v10, v51, v49
	v_mov_b32_e32 v18, v16
	v_add_f32_e32 v10, v10, v63
	v_fmac_f32_e32 v18, 0xbf737871, v13
	v_fmac_f32_e32 v16, 0x3f737871, v13
	v_add_f32_e32 v13, v55, v32
	v_add_f32_e32 v10, v10, v56
	v_sub_f32_e32 v17, v63, v49
	v_sub_f32_e32 v19, v56, v15
	v_fma_f32 v13, -0.5, v13, v52
	v_add_f32_e32 v10, v10, v15
	v_fmac_f32_e32 v18, 0x3f167918, v11
	v_add_f32_e32 v17, v17, v19
	v_fmac_f32_e32 v16, 0xbf167918, v11
	v_sub_f32_e32 v20, v49, v15
	v_mov_b32_e32 v15, v13
	v_fmac_f32_e32 v18, 0x3e9e377a, v17
	v_fmac_f32_e32 v16, 0x3e9e377a, v17
	;; [unrolled: 1-line block ×3, first 2 shown]
	v_sub_f32_e32 v21, v63, v56
	v_sub_f32_e32 v17, v50, v55
	;; [unrolled: 1-line block ×3, first 2 shown]
	v_fmac_f32_e32 v13, 0x3f737871, v20
	v_fmac_f32_e32 v15, 0xbf167918, v21
	v_add_f32_e32 v17, v17, v19
	v_fmac_f32_e32 v13, 0x3f167918, v21
	v_fmac_f32_e32 v15, 0x3e9e377a, v17
	;; [unrolled: 1-line block ×3, first 2 shown]
	v_add_f32_e32 v17, v50, v33
	v_fma_f32 v17, -0.5, v17, v52
	v_mov_b32_e32 v19, v17
	v_fmac_f32_e32 v19, 0x3f737871, v21
	v_sub_f32_e32 v22, v55, v50
	v_sub_f32_e32 v23, v32, v33
	v_fmac_f32_e32 v17, 0xbf737871, v21
	v_mul_f32_e32 v61, v61, v25
	v_fmac_f32_e32 v19, 0xbf167918, v20
	v_add_f32_e32 v22, v22, v23
	v_fmac_f32_e32 v17, 0x3f167918, v20
	v_add_f32_e32 v21, v27, v58
	v_fmac_f32_e32 v61, v62, v24
	v_fmac_f32_e32 v19, 0x3e9e377a, v22
	;; [unrolled: 1-line block ×3, first 2 shown]
	v_fma_f32 v22, -0.5, v21, v53
	v_sub_f32_e32 v21, v60, v61
	v_mov_b32_e32 v24, v22
	v_fmac_f32_e32 v24, 0x3f737871, v21
	v_sub_f32_e32 v23, v57, v47
	v_sub_f32_e32 v25, v59, v27
	;; [unrolled: 1-line block ×3, first 2 shown]
	v_fmac_f32_e32 v22, 0xbf737871, v21
	v_fmac_f32_e32 v24, 0x3f167918, v23
	v_add_f32_e32 v25, v25, v26
	v_fmac_f32_e32 v22, 0xbf167918, v23
	v_fmac_f32_e32 v24, 0x3e9e377a, v25
	;; [unrolled: 1-line block ×3, first 2 shown]
	v_add_f32_e32 v25, v59, v48
	v_add_f32_e32 v20, v53, v59
	v_fma_f32 v53, -0.5, v25, v53
	v_mov_b32_e32 v26, v53
	v_add_f32_e32 v3, v3, v28
	v_fmac_f32_e32 v26, 0xbf737871, v23
	v_sub_f32_e32 v25, v27, v59
	v_sub_f32_e32 v28, v58, v48
	v_fmac_f32_e32 v53, 0x3f737871, v23
	v_add_f32_e32 v23, v57, v47
	v_fmac_f32_e32 v26, 0x3f167918, v21
	v_add_f32_e32 v25, v25, v28
	v_fmac_f32_e32 v53, 0xbf167918, v21
	v_fma_f32 v23, -0.5, v23, v54
	v_fmac_f32_e32 v26, 0x3e9e377a, v25
	v_fmac_f32_e32 v53, 0x3e9e377a, v25
	v_sub_f32_e32 v28, v59, v48
	v_mov_b32_e32 v25, v23
	v_add_f32_e32 v3, v3, v30
	v_add_f32_e32 v20, v20, v27
	v_fmac_f32_e32 v25, 0xbf737871, v28
	v_sub_f32_e32 v29, v27, v58
	v_sub_f32_e32 v27, v60, v57
	;; [unrolled: 1-line block ×3, first 2 shown]
	v_fmac_f32_e32 v23, 0x3f737871, v28
	v_fmac_f32_e32 v25, 0xbf167918, v29
	v_add_f32_e32 v27, v27, v30
	v_fmac_f32_e32 v23, 0x3f167918, v29
	v_fmac_f32_e32 v25, 0x3e9e377a, v27
	;; [unrolled: 1-line block ×3, first 2 shown]
	v_add_f32_e32 v27, v60, v61
	v_add_f32_e32 v21, v54, v60
	v_fmac_f32_e32 v54, -0.5, v27
	v_add_f32_e32 v11, v52, v50
	v_mov_b32_e32 v27, v54
	v_add_f32_e32 v3, v3, v31
	v_add_f32_e32 v11, v11, v55
	v_add_f32_e32 v21, v21, v57
	v_fmac_f32_e32 v27, 0x3f737871, v29
	v_sub_f32_e32 v30, v57, v60
	v_sub_f32_e32 v31, v47, v61
	v_fmac_f32_e32 v54, 0xbf737871, v29
	v_add_f32_e32 v11, v11, v32
	v_add_f32_e32 v20, v20, v58
	;; [unrolled: 1-line block ×3, first 2 shown]
	v_fmac_f32_e32 v27, 0xbf167918, v28
	v_add_f32_e32 v30, v30, v31
	v_fmac_f32_e32 v54, 0x3f167918, v28
	v_add_f32_e32 v11, v11, v33
	v_add_f32_e32 v20, v20, v48
	;; [unrolled: 1-line block ×3, first 2 shown]
	v_fmac_f32_e32 v27, 0x3e9e377a, v30
	v_fmac_f32_e32 v54, 0x3e9e377a, v30
	ds_write2_b64 v1, v[8:9], v[34:35] offset0:76 offset1:178
	ds_write_b64 v46, v[4:5] offset:3264
	ds_write2_b64 v46, v[2:3], v[10:11] offset1:34
	ds_write2_b64 v46, v[20:21], v[6:7] offset0:68 offset1:102
	ds_write2_b64 v46, v[14:15], v[24:25] offset0:136 offset1:170
	;; [unrolled: 1-line block ×5, first 2 shown]
	s_waitcnt lgkmcnt(0)
	s_barrier
	ds_read_b64 v[0:1], v45
	v_sub_u32_e32 v6, v44, v39
                                        ; implicit-def: $vgpr3
                                        ; implicit-def: $vgpr7
                                        ; implicit-def: $vgpr4_vgpr5
	s_and_saveexec_b64 s[6:7], s[2:3]
	s_xor_b64 s[6:7], exec, s[6:7]
	s_cbranch_execz .LBB0_20
; %bb.19:
	v_mov_b32_e32 v39, 0
	v_lshlrev_b64 v[2:3], 3, v[38:39]
	v_mov_b32_e32 v4, s13
	v_add_co_u32_e64 v2, s[2:3], s12, v2
	v_addc_co_u32_e64 v3, s[2:3], v4, v3, s[2:3]
	global_load_dwordx2 v[2:3], v[2:3], off offset:3944
	ds_read_b64 v[4:5], v6 offset:4080
	s_waitcnt lgkmcnt(0)
	v_add_f32_e32 v8, v4, v0
	v_sub_f32_e32 v0, v0, v4
	v_add_f32_e32 v7, v5, v1
	v_sub_f32_e32 v1, v1, v5
	v_mul_f32_e32 v0, 0.5, v0
	v_mul_f32_e32 v4, 0.5, v7
	;; [unrolled: 1-line block ×3, first 2 shown]
	s_waitcnt vmcnt(0)
	v_mul_f32_e32 v5, v3, v0
	v_fma_f32 v7, v4, v3, v1
	v_fma_f32 v1, v4, v3, -v1
	v_fma_f32 v9, 0.5, v8, v5
	v_fma_f32 v5, v8, 0.5, -v5
	v_fma_f32 v7, -v2, v0, v7
	v_fma_f32 v3, -v2, v0, v1
	v_fmac_f32_e32 v9, v2, v4
	v_fma_f32 v2, -v2, v4, v5
	v_mov_b32_e32 v4, v38
	ds_write_b32 v45, v9
	v_mov_b32_e32 v5, v39
                                        ; implicit-def: $vgpr0_vgpr1
.LBB0_20:
	s_andn2_saveexec_b64 s[2:3], s[6:7]
	s_cbranch_execz .LBB0_22
; %bb.21:
	ds_read_b32 v3, v44 offset:2044
	s_waitcnt lgkmcnt(1)
	v_add_f32_e32 v7, v0, v1
	v_mov_b32_e32 v4, 0
	ds_write_b32 v45, v7
	v_mov_b32_e32 v7, 0
	v_sub_f32_e32 v2, v0, v1
	v_mov_b32_e32 v5, 0
	s_waitcnt lgkmcnt(1)
	v_xor_b32_e32 v0, 0x80000000, v3
	v_mov_b32_e32 v3, v7
	ds_write_b32 v44, v0 offset:2044
.LBB0_22:
	s_or_b64 exec, exec, s[2:3]
	s_add_u32 s2, s12, 0xf68
	s_waitcnt lgkmcnt(0)
	v_lshlrev_b64 v[0:1], 3, v[4:5]
	s_addc_u32 s3, s13, 0
	v_mov_b32_e32 v4, s3
	v_add_co_u32_e64 v0, s[2:3], s2, v0
	v_addc_co_u32_e64 v1, s[2:3], v4, v1, s[2:3]
	global_load_dwordx2 v[4:5], v[0:1], off offset:272
	global_load_dwordx2 v[8:9], v[0:1], off offset:544
	;; [unrolled: 1-line block ×3, first 2 shown]
	ds_write_b32 v45, v7 offset:4
	ds_write_b64 v6, v[2:3] offset:4080
	ds_read_b64 v[2:3], v45 offset:272
	ds_read_b64 v[12:13], v6 offset:3808
	global_load_dwordx2 v[14:15], v[0:1], off offset:1088
	s_waitcnt lgkmcnt(0)
	v_add_f32_e32 v7, v2, v12
	v_sub_f32_e32 v2, v2, v12
	v_add_f32_e32 v16, v3, v13
	v_sub_f32_e32 v3, v3, v13
	v_mul_f32_e32 v13, 0.5, v2
	v_mul_f32_e32 v12, 0.5, v16
	v_mul_f32_e32 v2, 0.5, v3
	s_waitcnt vmcnt(3)
	v_mul_f32_e32 v16, v5, v13
	v_fma_f32 v3, v12, v5, v2
	v_fma_f32 v5, v12, v5, -v2
	v_fma_f32 v2, 0.5, v7, v16
	v_fma_f32 v3, -v4, v13, v3
	v_fma_f32 v7, v7, 0.5, -v16
	v_fmac_f32_e32 v2, v4, v12
	v_fma_f32 v5, -v4, v13, v5
	v_fma_f32 v4, -v4, v12, v7
	ds_write_b64 v45, v[2:3] offset:272
	ds_write_b64 v6, v[4:5] offset:3808
	ds_read_b64 v[2:3], v45 offset:544
	ds_read_b64 v[4:5], v6 offset:3536
	global_load_dwordx2 v[12:13], v[0:1], off offset:1360
	s_waitcnt lgkmcnt(0)
	v_add_f32_e32 v7, v2, v4
	v_sub_f32_e32 v2, v2, v4
	v_add_f32_e32 v16, v3, v5
	v_sub_f32_e32 v3, v3, v5
	v_mul_f32_e32 v5, 0.5, v2
	v_mul_f32_e32 v4, 0.5, v16
	v_mul_f32_e32 v2, 0.5, v3
	s_waitcnt vmcnt(3)
	v_mul_f32_e32 v16, v9, v5
	v_fma_f32 v3, v4, v9, v2
	v_fma_f32 v9, v4, v9, -v2
	v_fma_f32 v2, 0.5, v7, v16
	v_fma_f32 v3, -v8, v5, v3
	v_fma_f32 v7, v7, 0.5, -v16
	v_fmac_f32_e32 v2, v8, v4
	v_fma_f32 v5, -v8, v5, v9
	v_fma_f32 v4, -v8, v4, v7
	ds_write_b64 v45, v[2:3] offset:544
	;; [unrolled: 23-line block ×3, first 2 shown]
	ds_write_b64 v6, v[4:5] offset:3264
	ds_read_b64 v[2:3], v45 offset:1088
	ds_read_b64 v[4:5], v6 offset:2992
	s_waitcnt lgkmcnt(0)
	v_add_f32_e32 v9, v2, v4
	v_sub_f32_e32 v2, v2, v4
	v_add_f32_e32 v10, v3, v5
	v_sub_f32_e32 v3, v3, v5
	v_mul_f32_e32 v5, 0.5, v2
	v_mul_f32_e32 v4, 0.5, v10
	v_mul_f32_e32 v2, 0.5, v3
	s_waitcnt vmcnt(2)
	v_mul_f32_e32 v10, v15, v5
	v_fma_f32 v3, v4, v15, v2
	v_fma_f32 v11, v4, v15, -v2
	v_fma_f32 v2, 0.5, v9, v10
	v_fma_f32 v3, -v14, v5, v3
	v_fma_f32 v9, v9, 0.5, -v10
	v_fmac_f32_e32 v2, v14, v4
	v_fma_f32 v5, -v14, v5, v11
	v_fma_f32 v4, -v14, v4, v9
	ds_write_b64 v45, v[2:3] offset:1088
	ds_write_b64 v6, v[4:5] offset:2992
	ds_read_b64 v[2:3], v45 offset:1360
	ds_read_b64 v[4:5], v6 offset:2720
	s_waitcnt lgkmcnt(0)
	v_add_f32_e32 v9, v2, v4
	v_sub_f32_e32 v2, v2, v4
	v_add_f32_e32 v10, v3, v5
	v_sub_f32_e32 v3, v3, v5
	v_mul_f32_e32 v5, 0.5, v2
	v_mul_f32_e32 v4, 0.5, v10
	v_mul_f32_e32 v2, 0.5, v3
	s_waitcnt vmcnt(1)
	v_mul_f32_e32 v10, v13, v5
	v_fma_f32 v3, v4, v13, v2
	v_fma_f32 v11, v4, v13, -v2
	v_fma_f32 v2, 0.5, v9, v10
	v_fma_f32 v3, -v12, v5, v3
	v_fma_f32 v9, v9, 0.5, -v10
	v_fmac_f32_e32 v2, v12, v4
	v_fma_f32 v5, -v12, v5, v11
	v_fma_f32 v4, -v12, v4, v9
	ds_write_b64 v45, v[2:3] offset:1360
	;; [unrolled: 22-line block ×3, first 2 shown]
	ds_write_b64 v6, v[4:5] offset:2448
	s_and_saveexec_b64 s[2:3], s[0:1]
	s_cbranch_execz .LBB0_24
; %bb.23:
	global_load_dwordx2 v[0:1], v[0:1], off offset:1904
	ds_read_b64 v[2:3], v45 offset:1904
	ds_read_b64 v[4:5], v6 offset:2176
	s_waitcnt lgkmcnt(0)
	v_add_f32_e32 v7, v2, v4
	v_sub_f32_e32 v2, v2, v4
	v_add_f32_e32 v8, v3, v5
	v_sub_f32_e32 v3, v3, v5
	v_mul_f32_e32 v4, 0.5, v2
	v_mul_f32_e32 v5, 0.5, v8
	;; [unrolled: 1-line block ×3, first 2 shown]
	s_waitcnt vmcnt(0)
	v_mul_f32_e32 v3, v1, v4
	v_fma_f32 v8, v5, v1, v2
	v_fma_f32 v9, v5, v1, -v2
	v_fma_f32 v1, 0.5, v7, v3
	v_fma_f32 v2, -v0, v4, v8
	v_fma_f32 v3, v7, 0.5, -v3
	v_fmac_f32_e32 v1, v0, v5
	v_fma_f32 v4, -v0, v4, v9
	v_fma_f32 v3, -v0, v5, v3
	ds_write_b64 v45, v[1:2] offset:1904
	ds_write_b64 v6, v[3:4] offset:2176
.LBB0_24:
	s_or_b64 exec, exec, s[2:3]
	s_waitcnt lgkmcnt(0)
	s_barrier
	s_and_saveexec_b64 s[0:1], vcc
	s_cbranch_execz .LBB0_27
; %bb.25:
	v_mul_lo_u32 v2, s5, v40
	v_mul_lo_u32 v3, s4, v41
	v_mad_u64_u32 v[0:1], s[0:1], s4, v40, 0
	v_mov_b32_e32 v7, s11
	v_mov_b32_e32 v39, 0
	v_add3_u32 v1, v1, v3, v2
	v_lshlrev_b64 v[0:1], 3, v[0:1]
	v_lshl_add_u32 v2, v38, 3, v44
	v_add_co_u32_e32 v8, vcc, s10, v0
	v_addc_co_u32_e32 v7, vcc, v7, v1, vcc
	v_lshlrev_b64 v[0:1], 3, v[36:37]
	ds_read2_b64 v[3:6], v2 offset1:34
	v_add_co_u32_e32 v0, vcc, v8, v0
	v_addc_co_u32_e32 v1, vcc, v7, v1, vcc
	v_lshlrev_b64 v[7:8], 3, v[38:39]
	v_add_u32_e32 v9, 0x800, v2
	v_add_co_u32_e32 v7, vcc, v0, v7
	v_addc_co_u32_e32 v8, vcc, v1, v8, vcc
	s_waitcnt lgkmcnt(0)
	global_store_dwordx2 v[7:8], v[3:4], off
	v_add_u32_e32 v3, 34, v38
	v_mov_b32_e32 v4, v39
	v_lshlrev_b64 v[3:4], 3, v[3:4]
	v_add_u32_e32 v7, 0x44, v38
	v_add_co_u32_e32 v3, vcc, v0, v3
	v_addc_co_u32_e32 v4, vcc, v1, v4, vcc
	global_store_dwordx2 v[3:4], v[5:6], off
	v_mov_b32_e32 v8, v39
	ds_read2_b64 v[3:6], v2 offset0:68 offset1:102
	v_lshlrev_b64 v[7:8], 3, v[7:8]
	v_add_co_u32_e32 v7, vcc, v0, v7
	v_addc_co_u32_e32 v8, vcc, v1, v8, vcc
	s_waitcnt lgkmcnt(0)
	global_store_dwordx2 v[7:8], v[3:4], off
	v_add_u32_e32 v3, 0x66, v38
	v_mov_b32_e32 v4, v39
	v_lshlrev_b64 v[3:4], 3, v[3:4]
	v_add_u32_e32 v7, 0x88, v38
	v_add_co_u32_e32 v3, vcc, v0, v3
	v_addc_co_u32_e32 v4, vcc, v1, v4, vcc
	global_store_dwordx2 v[3:4], v[5:6], off
	v_mov_b32_e32 v8, v39
	ds_read2_b64 v[3:6], v2 offset0:136 offset1:170
	v_lshlrev_b64 v[7:8], 3, v[7:8]
	;; [unrolled: 14-line block ×6, first 2 shown]
	v_add_co_u32_e32 v7, vcc, v0, v7
	v_addc_co_u32_e32 v8, vcc, v1, v8, vcc
	s_waitcnt lgkmcnt(0)
	global_store_dwordx2 v[7:8], v[3:4], off
	v_add_u32_e32 v3, 0x1ba, v38
	v_mov_b32_e32 v4, v39
	v_lshlrev_b64 v[3:4], 3, v[3:4]
	v_add_co_u32_e32 v3, vcc, v0, v3
	v_addc_co_u32_e32 v4, vcc, v1, v4, vcc
	global_store_dwordx2 v[3:4], v[5:6], off
	v_add_u32_e32 v3, 0x1dc, v38
	v_mov_b32_e32 v4, v39
	ds_read_b64 v[5:6], v2 offset:3808
	v_lshlrev_b64 v[3:4], 3, v[3:4]
	v_add_co_u32_e32 v3, vcc, v0, v3
	v_addc_co_u32_e32 v4, vcc, v1, v4, vcc
	v_cmp_eq_u32_e32 vcc, 33, v38
	s_waitcnt lgkmcnt(0)
	global_store_dwordx2 v[3:4], v[5:6], off
	s_and_b64 exec, exec, vcc
	s_cbranch_execz .LBB0_27
; %bb.26:
	ds_read_b64 v[2:3], v2 offset:3816
	s_waitcnt lgkmcnt(0)
	global_store_dwordx2 v[0:1], v[2:3], off offset:4080
.LBB0_27:
	s_endpgm
	.section	.rodata,"a",@progbits
	.p2align	6, 0x0
	.amdhsa_kernel fft_rtc_fwd_len510_factors_17_2_3_5_wgs_238_tpt_34_halfLds_sp_op_CI_CI_unitstride_sbrr_R2C_dirReg
		.amdhsa_group_segment_fixed_size 0
		.amdhsa_private_segment_fixed_size 0
		.amdhsa_kernarg_size 104
		.amdhsa_user_sgpr_count 6
		.amdhsa_user_sgpr_private_segment_buffer 1
		.amdhsa_user_sgpr_dispatch_ptr 0
		.amdhsa_user_sgpr_queue_ptr 0
		.amdhsa_user_sgpr_kernarg_segment_ptr 1
		.amdhsa_user_sgpr_dispatch_id 0
		.amdhsa_user_sgpr_flat_scratch_init 0
		.amdhsa_user_sgpr_private_segment_size 0
		.amdhsa_uses_dynamic_stack 0
		.amdhsa_system_sgpr_private_segment_wavefront_offset 0
		.amdhsa_system_sgpr_workgroup_id_x 1
		.amdhsa_system_sgpr_workgroup_id_y 0
		.amdhsa_system_sgpr_workgroup_id_z 0
		.amdhsa_system_sgpr_workgroup_info 0
		.amdhsa_system_vgpr_workitem_id 0
		.amdhsa_next_free_vgpr 179
		.amdhsa_next_free_sgpr 28
		.amdhsa_reserve_vcc 1
		.amdhsa_reserve_flat_scratch 0
		.amdhsa_float_round_mode_32 0
		.amdhsa_float_round_mode_16_64 0
		.amdhsa_float_denorm_mode_32 3
		.amdhsa_float_denorm_mode_16_64 3
		.amdhsa_dx10_clamp 1
		.amdhsa_ieee_mode 1
		.amdhsa_fp16_overflow 0
		.amdhsa_exception_fp_ieee_invalid_op 0
		.amdhsa_exception_fp_denorm_src 0
		.amdhsa_exception_fp_ieee_div_zero 0
		.amdhsa_exception_fp_ieee_overflow 0
		.amdhsa_exception_fp_ieee_underflow 0
		.amdhsa_exception_fp_ieee_inexact 0
		.amdhsa_exception_int_div_zero 0
	.end_amdhsa_kernel
	.text
.Lfunc_end0:
	.size	fft_rtc_fwd_len510_factors_17_2_3_5_wgs_238_tpt_34_halfLds_sp_op_CI_CI_unitstride_sbrr_R2C_dirReg, .Lfunc_end0-fft_rtc_fwd_len510_factors_17_2_3_5_wgs_238_tpt_34_halfLds_sp_op_CI_CI_unitstride_sbrr_R2C_dirReg
                                        ; -- End function
	.section	.AMDGPU.csdata,"",@progbits
; Kernel info:
; codeLenInByte = 12396
; NumSgprs: 32
; NumVgprs: 179
; ScratchSize: 0
; MemoryBound: 0
; FloatMode: 240
; IeeeMode: 1
; LDSByteSize: 0 bytes/workgroup (compile time only)
; SGPRBlocks: 3
; VGPRBlocks: 44
; NumSGPRsForWavesPerEU: 32
; NumVGPRsForWavesPerEU: 179
; Occupancy: 1
; WaveLimiterHint : 1
; COMPUTE_PGM_RSRC2:SCRATCH_EN: 0
; COMPUTE_PGM_RSRC2:USER_SGPR: 6
; COMPUTE_PGM_RSRC2:TRAP_HANDLER: 0
; COMPUTE_PGM_RSRC2:TGID_X_EN: 1
; COMPUTE_PGM_RSRC2:TGID_Y_EN: 0
; COMPUTE_PGM_RSRC2:TGID_Z_EN: 0
; COMPUTE_PGM_RSRC2:TIDIG_COMP_CNT: 0
	.type	__hip_cuid_6814c6947cbfd483,@object ; @__hip_cuid_6814c6947cbfd483
	.section	.bss,"aw",@nobits
	.globl	__hip_cuid_6814c6947cbfd483
__hip_cuid_6814c6947cbfd483:
	.byte	0                               ; 0x0
	.size	__hip_cuid_6814c6947cbfd483, 1

	.ident	"AMD clang version 19.0.0git (https://github.com/RadeonOpenCompute/llvm-project roc-6.4.0 25133 c7fe45cf4b819c5991fe208aaa96edf142730f1d)"
	.section	".note.GNU-stack","",@progbits
	.addrsig
	.addrsig_sym __hip_cuid_6814c6947cbfd483
	.amdgpu_metadata
---
amdhsa.kernels:
  - .args:
      - .actual_access:  read_only
        .address_space:  global
        .offset:         0
        .size:           8
        .value_kind:     global_buffer
      - .offset:         8
        .size:           8
        .value_kind:     by_value
      - .actual_access:  read_only
        .address_space:  global
        .offset:         16
        .size:           8
        .value_kind:     global_buffer
      - .actual_access:  read_only
        .address_space:  global
        .offset:         24
        .size:           8
        .value_kind:     global_buffer
      - .actual_access:  read_only
        .address_space:  global
        .offset:         32
        .size:           8
        .value_kind:     global_buffer
      - .offset:         40
        .size:           8
        .value_kind:     by_value
      - .actual_access:  read_only
        .address_space:  global
        .offset:         48
        .size:           8
        .value_kind:     global_buffer
      - .actual_access:  read_only
        .address_space:  global
        .offset:         56
        .size:           8
        .value_kind:     global_buffer
      - .offset:         64
        .size:           4
        .value_kind:     by_value
      - .actual_access:  read_only
        .address_space:  global
        .offset:         72
        .size:           8
        .value_kind:     global_buffer
      - .actual_access:  read_only
        .address_space:  global
        .offset:         80
        .size:           8
        .value_kind:     global_buffer
      - .actual_access:  read_only
        .address_space:  global
        .offset:         88
        .size:           8
        .value_kind:     global_buffer
      - .actual_access:  write_only
        .address_space:  global
        .offset:         96
        .size:           8
        .value_kind:     global_buffer
    .group_segment_fixed_size: 0
    .kernarg_segment_align: 8
    .kernarg_segment_size: 104
    .language:       OpenCL C
    .language_version:
      - 2
      - 0
    .max_flat_workgroup_size: 238
    .name:           fft_rtc_fwd_len510_factors_17_2_3_5_wgs_238_tpt_34_halfLds_sp_op_CI_CI_unitstride_sbrr_R2C_dirReg
    .private_segment_fixed_size: 0
    .sgpr_count:     32
    .sgpr_spill_count: 0
    .symbol:         fft_rtc_fwd_len510_factors_17_2_3_5_wgs_238_tpt_34_halfLds_sp_op_CI_CI_unitstride_sbrr_R2C_dirReg.kd
    .uniform_work_group_size: 1
    .uses_dynamic_stack: false
    .vgpr_count:     179
    .vgpr_spill_count: 0
    .wavefront_size: 64
amdhsa.target:   amdgcn-amd-amdhsa--gfx906
amdhsa.version:
  - 1
  - 2
...

	.end_amdgpu_metadata
